;; amdgpu-corpus repo=ROCm/rocFFT kind=compiled arch=gfx950 opt=O3
	.text
	.amdgcn_target "amdgcn-amd-amdhsa--gfx950"
	.amdhsa_code_object_version 6
	.protected	bluestein_single_back_len891_dim1_dp_op_CI_CI ; -- Begin function bluestein_single_back_len891_dim1_dp_op_CI_CI
	.globl	bluestein_single_back_len891_dim1_dp_op_CI_CI
	.p2align	8
	.type	bluestein_single_back_len891_dim1_dp_op_CI_CI,@function
bluestein_single_back_len891_dim1_dp_op_CI_CI: ; @bluestein_single_back_len891_dim1_dp_op_CI_CI
; %bb.0:
	s_load_dwordx4 s[16:19], s[0:1], 0x28
	v_mul_u32_u24_e32 v1, 0x296, v0
	v_lshrrev_b32_e32 v42, 16, v1
	v_mov_b32_e32 v161, 0
	v_lshl_add_u32 v162, s2, 1, v42
	v_mov_b32_e32 v163, v161
	s_waitcnt lgkmcnt(0)
	v_cmp_gt_u64_e32 vcc, s[16:17], v[162:163]
	s_and_saveexec_b64 s[2:3], vcc
	s_cbranch_execz .LBB0_10
; %bb.1:
	s_load_dwordx4 s[4:7], s[0:1], 0x18
	s_load_dwordx4 s[8:11], s[0:1], 0x0
	v_mul_lo_u16_e32 v1, 0x63, v42
	v_sub_u16_e32 v160, v0, v1
	v_mov_b32_e32 v2, s18
	s_waitcnt lgkmcnt(0)
	s_load_dwordx4 s[12:15], s[4:5], 0x0
	v_mov_b32_e32 v3, s19
	v_lshlrev_b32_e32 v40, 4, v160
	v_mov_b32_e32 v41, v161
	v_lshl_add_u64 v[24:25], s[8:9], 0, v[40:41]
	s_waitcnt lgkmcnt(0)
	v_mad_u64_u32 v[0:1], s[2:3], s14, v162, 0
	v_mov_b32_e32 v4, v1
	v_mad_u64_u32 v[4:5], s[2:3], s15, v162, v[4:5]
	v_mov_b32_e32 v1, v4
	;; [unrolled: 2-line block ×4, first 2 shown]
	v_lshl_add_u64 v[0:1], v[0:1], 4, v[2:3]
	v_lshl_add_u64 v[0:1], v[4:5], 4, v[0:1]
	v_mov_b32_e32 v2, 0x630
	v_mad_u64_u32 v[4:5], s[2:3], s12, v2, v[0:1]
	s_mul_i32 s2, s13, 0x630
	s_nop 0
	v_add_u32_e32 v5, s2, v5
	v_mad_u64_u32 v[6:7], s[4:5], s12, v2, v[4:5]
	global_load_dwordx4 v[36:39], v[0:1], off
	v_add_u32_e32 v7, s2, v7
	global_load_dwordx4 v[242:245], v40, s[8:9]
	global_load_dwordx4 v[234:237], v40, s[8:9] offset:1584
	v_mad_u64_u32 v[8:9], s[4:5], s12, v2, v[6:7]
	v_add_u32_e32 v9, s2, v9
	global_load_dwordx4 v[44:47], v[4:5], off
	global_load_dwordx4 v[48:51], v[6:7], off
	global_load_dwordx4 v[222:225], v40, s[8:9] offset:3168
	s_movk_i32 s3, 0x1000
	v_mad_u64_u32 v[10:11], s[4:5], s12, v2, v[8:9]
	v_add_co_u32_e32 v16, vcc, s3, v24
	v_add_u32_e32 v11, s2, v11
	s_nop 0
	v_addc_co_u32_e32 v17, vcc, 0, v25, vcc
	global_load_dwordx4 v[52:55], v[8:9], off
	global_load_dwordx4 v[56:59], v[10:11], off
	global_load_dwordx4 v[32:35], v[16:17], off offset:656
	global_load_dwordx4 v[226:229], v[16:17], off offset:2240
	v_mad_u64_u32 v[8:9], s[4:5], s12, v2, v[10:11]
	v_add_u32_e32 v9, s2, v9
	v_mad_u64_u32 v[18:19], s[4:5], s12, v2, v[8:9]
	v_add_u32_e32 v19, s2, v19
	s_movk_i32 s3, 0x2000
	global_load_dwordx4 v[60:63], v[8:9], off
	v_add_co_u32_e32 v26, vcc, s3, v24
	v_mad_u64_u32 v[72:73], s[4:5], s12, v2, v[18:19]
	global_load_dwordx4 v[64:67], v[18:19], off
	v_addc_co_u32_e32 v27, vcc, 0, v25, vcc
	global_load_dwordx4 v[28:31], v[16:17], off offset:3824
	global_load_dwordx4 v[230:233], v[26:27], off offset:1312
	v_add_u32_e32 v73, s2, v73
	v_mad_u64_u32 v[76:77], s[4:5], s12, v2, v[72:73]
	v_add_u32_e32 v77, s2, v77
	s_movk_i32 s2, 0x3000
	global_load_dwordx4 v[68:71], v[72:73], off
	global_load_dwordx4 v[238:241], v[26:27], off offset:2896
	v_add_co_u32_e32 v78, vcc, s2, v24
	v_and_b32_e32 v0, 1, v42
	s_nop 0
	v_addc_co_u32_e32 v79, vcc, 0, v25, vcc
	global_load_dwordx4 v[24:27], v[78:79], off offset:384
	global_load_dwordx4 v[72:75], v[76:77], off
	v_mov_b32_e32 v1, 0x37b
	v_cmp_eq_u32_e32 vcc, 1, v0
	s_load_dwordx4 s[4:7], s[6:7], 0x0
	s_mov_b32 s18, 0xa2cf5039
	v_cndmask_b32_e32 v0, 0, v1, vcc
	v_lshlrev_b32_e32 v220, 4, v0
	v_add_u32_e32 v163, v220, v40
	s_mov_b32 s3, 0x3fe491b7
	s_mov_b32 s2, 0x523c161c
	;; [unrolled: 1-line block ×15, first 2 shown]
	v_mul_lo_u16_e32 v0, 9, v160
	v_lshl_add_u32 v221, v0, 4, v220
                                        ; implicit-def: $vgpr112_vgpr113
                                        ; implicit-def: $vgpr116_vgpr117
	s_waitcnt vmcnt(16)
	v_mul_f64 v[40:41], v[38:39], v[244:245]
	v_mul_f64 v[42:43], v[36:37], v[244:245]
	v_fmac_f64_e32 v[40:41], v[36:37], v[242:243]
	v_fma_f64 v[42:43], v[38:39], v[242:243], -v[42:43]
	s_waitcnt vmcnt(14)
	v_mul_f64 v[36:37], v[46:47], v[236:237]
	v_mul_f64 v[38:39], v[44:45], v[236:237]
	v_fmac_f64_e32 v[36:37], v[44:45], v[234:235]
	v_fma_f64 v[38:39], v[46:47], v[234:235], -v[38:39]
	ds_write_b128 v163, v[36:39] offset:1584
	s_waitcnt vmcnt(12)
	v_mul_f64 v[36:37], v[50:51], v[224:225]
	v_mul_f64 v[38:39], v[48:49], v[224:225]
	v_fmac_f64_e32 v[36:37], v[48:49], v[222:223]
	v_fma_f64 v[38:39], v[50:51], v[222:223], -v[38:39]
	ds_write_b128 v163, v[36:39] offset:3168
	s_waitcnt vmcnt(9)
	v_mul_f64 v[36:37], v[54:55], v[34:35]
	v_mul_f64 v[38:39], v[52:53], v[34:35]
	v_fmac_f64_e32 v[36:37], v[52:53], v[32:33]
	v_fma_f64 v[38:39], v[54:55], v[32:33], -v[38:39]
	ds_write_b128 v163, v[36:39] offset:4752
	s_waitcnt vmcnt(8)
	v_mul_f64 v[36:37], v[58:59], v[228:229]
	v_mul_f64 v[38:39], v[56:57], v[228:229]
	v_fmac_f64_e32 v[36:37], v[56:57], v[226:227]
	v_fma_f64 v[38:39], v[58:59], v[226:227], -v[38:39]
	ds_write_b128 v163, v[36:39] offset:6336
	ds_write_b128 v163, v[40:43]
	s_waitcnt vmcnt(5)
	v_mul_f64 v[36:37], v[62:63], v[30:31]
	v_mul_f64 v[38:39], v[60:61], v[30:31]
	v_fmac_f64_e32 v[36:37], v[60:61], v[28:29]
	v_fma_f64 v[38:39], v[62:63], v[28:29], -v[38:39]
	ds_write_b128 v163, v[36:39] offset:7920
	s_waitcnt vmcnt(4)
	v_mul_f64 v[36:37], v[66:67], v[232:233]
	v_mul_f64 v[38:39], v[64:65], v[232:233]
	v_fmac_f64_e32 v[36:37], v[64:65], v[230:231]
	v_fma_f64 v[38:39], v[66:67], v[230:231], -v[38:39]
	ds_write_b128 v163, v[36:39] offset:9504
	;; [unrolled: 6-line block ×4, first 2 shown]
	s_waitcnt lgkmcnt(0)
	s_barrier
	ds_read_b128 v[36:39], v163
	ds_read_b128 v[52:55], v163 offset:1584
	ds_read_b128 v[56:59], v163 offset:3168
	;; [unrolled: 1-line block ×8, first 2 shown]
	s_waitcnt lgkmcnt(4)
	v_add_f64 v[42:43], v[52:53], v[64:65]
	v_add_f64 v[40:41], v[54:55], v[66:67]
	s_waitcnt lgkmcnt(2)
	v_add_f64 v[50:51], v[56:57], v[72:73]
	v_add_f64 v[48:49], v[58:59], v[74:75]
	;; [unrolled: 1-line block ×4, first 2 shown]
	v_add_f64 v[56:57], v[56:57], -v[72:73]
	v_add_f64 v[62:63], v[62:63], -v[70:71]
	v_add_f64 v[70:71], v[50:51], v[42:43]
	v_add_f64 v[72:73], v[48:49], v[40:41]
	v_add_f64 v[58:59], v[58:59], -v[74:75]
	v_add_f64 v[74:75], v[46:47], v[70:71]
	v_add_f64 v[84:85], v[44:45], v[72:73]
	v_add_f64 v[52:53], v[52:53], -v[64:65]
	v_add_f64 v[54:55], v[54:55], -v[66:67]
	;; [unrolled: 1-line block ×3, first 2 shown]
	s_waitcnt lgkmcnt(0)
	v_add_f64 v[64:65], v[76:77], -v[80:81]
	v_add_f64 v[68:69], v[76:77], v[80:81]
	v_add_f64 v[74:75], v[76:77], v[74:75]
	;; [unrolled: 1-line block ×3, first 2 shown]
	v_add_f64 v[66:67], v[78:79], -v[82:83]
	v_add_f64 v[104:105], v[78:79], v[82:83]
	v_mul_f64 v[78:79], v[52:53], s[2:3]
	v_add_f64 v[74:75], v[80:81], v[74:75]
	v_add_f64 v[106:107], v[82:83], v[76:77]
	v_mul_f64 v[76:77], v[54:55], s[2:3]
	v_fma_f64 v[80:81], s[18:19], v[42:43], v[36:37]
	v_fma_f64 v[82:83], s[18:19], v[40:41], v[38:39]
	v_fmac_f64_e32 v[78:79], s[12:13], v[56:57]
	v_fmac_f64_e32 v[76:77], s[12:13], v[58:59]
	;; [unrolled: 1-line block ×6, first 2 shown]
	v_fmac_f64_e32 v[80:81], -0.5, v[46:47]
	v_fmac_f64_e32 v[82:83], -0.5, v[44:45]
	v_fmac_f64_e32 v[78:79], s[16:17], v[64:65]
	v_fmac_f64_e32 v[76:77], s[16:17], v[66:67]
	;; [unrolled: 1-line block ×4, first 2 shown]
	v_add_f64 v[80:81], v[76:77], v[80:81]
	v_add_f64 v[82:83], v[82:83], -v[78:79]
	s_mov_b32 s3, 0xbfe491b7
	v_fma_f64 v[92:93], -2.0, v[76:77], v[80:81]
	v_fma_f64 v[94:95], 2.0, v[78:79], v[82:83]
	v_mul_f64 v[76:77], v[64:65], s[2:3]
	v_mul_f64 v[78:79], v[66:67], s[2:3]
	v_fma_f64 v[84:85], s[18:19], v[68:69], v[36:37]
	v_fma_f64 v[86:87], s[18:19], v[104:105], v[38:39]
	v_fmac_f64_e32 v[76:77], s[12:13], v[52:53]
	v_fmac_f64_e32 v[78:79], s[12:13], v[54:55]
	;; [unrolled: 1-line block ×6, first 2 shown]
	v_fmac_f64_e32 v[84:85], -0.5, v[46:47]
	v_fmac_f64_e32 v[86:87], -0.5, v[44:45]
	v_add_f64 v[70:71], v[68:69], v[70:71]
	v_add_f64 v[88:89], v[36:37], v[46:47]
	v_fmac_f64_e32 v[76:77], s[16:17], v[56:57]
	v_fmac_f64_e32 v[78:79], s[16:17], v[58:59]
	v_fmac_f64_e32 v[84:85], s[22:23], v[50:51]
	v_fmac_f64_e32 v[86:87], s[22:23], v[48:49]
	v_fmac_f64_e32 v[88:89], -0.5, v[70:71]
	v_add_f64 v[90:91], v[38:39], v[44:45]
	v_add_f64 v[70:71], v[104:105], v[72:73]
	;; [unrolled: 1-line block ×3, first 2 shown]
	v_add_f64 v[86:87], v[86:87], -v[76:77]
	v_fmac_f64_e32 v[90:91], -0.5, v[70:71]
	v_add_f64 v[70:71], v[64:65], v[52:53]
	v_mul_f64 v[64:65], v[64:65], s[12:13]
	v_fma_f64 v[96:97], -2.0, v[78:79], v[84:85]
	v_fma_f64 v[98:99], 2.0, v[76:77], v[86:87]
	v_add_f64 v[70:71], v[70:71], -v[56:57]
	v_add_f64 v[72:73], v[66:67], v[54:55]
	v_fma_f64 v[56:57], v[56:57], s[2:3], -v[64:65]
	v_mul_f64 v[64:65], v[66:67], s[12:13]
	v_add_f64 v[76:77], v[36:37], v[74:75]
	v_add_f64 v[78:79], v[38:39], v[106:107]
	v_fmac_f64_e32 v[36:37], s[18:19], v[50:51]
	v_fmac_f64_e32 v[38:39], s[18:19], v[48:49]
	v_add_f64 v[72:73], v[72:73], -v[58:59]
	v_fma_f64 v[58:59], v[58:59], s[2:3], -v[64:65]
	s_load_dwordx2 s[2:3], s[0:1], 0x38
	v_fmac_f64_e32 v[36:37], s[20:21], v[68:69]
	v_fmac_f64_e32 v[38:39], s[20:21], v[104:105]
	;; [unrolled: 1-line block ×4, first 2 shown]
	v_fmac_f64_e32 v[36:37], -0.5, v[46:47]
	v_fmac_f64_e32 v[38:39], -0.5, v[44:45]
	v_fmac_f64_e32 v[56:57], s[16:17], v[52:53]
	v_fmac_f64_e32 v[58:59], s[16:17], v[54:55]
	;; [unrolled: 1-line block ×5, first 2 shown]
	v_mul_f64 v[70:71], v[70:71], s[14:15]
	v_fmac_f64_e32 v[88:89], s[14:15], v[72:73]
	v_mul_f64 v[72:73], v[72:73], s[14:15]
	v_add_f64 v[104:105], v[58:59], v[36:37]
	v_add_f64 v[106:107], v[38:39], -v[56:57]
	s_movk_i32 s0, 0x51
	v_fma_f64 v[100:101], -2.0, v[72:73], v[88:89]
	v_fma_f64 v[102:103], 2.0, v[70:71], v[90:91]
	v_fma_f64 v[108:109], -2.0, v[58:59], v[104:105]
	v_fma_f64 v[110:111], 2.0, v[56:57], v[106:107]
	v_cmp_gt_u16_e32 vcc, s0, v160
	s_waitcnt lgkmcnt(0)
	s_barrier
	ds_write_b128 v221, v[76:79]
	ds_write_b128 v221, v[80:83] offset:16
	ds_write_b128 v221, v[84:87] offset:32
	;; [unrolled: 1-line block ×8, first 2 shown]
	s_waitcnt lgkmcnt(0)
	s_barrier
	s_and_saveexec_b64 s[0:1], vcc
	s_cbranch_execz .LBB0_3
; %bb.2:
	ds_read_b128 v[76:79], v163
	ds_read_b128 v[80:83], v163 offset:1296
	ds_read_b128 v[84:87], v163 offset:2592
	ds_read_b128 v[88:91], v163 offset:3888
	ds_read_b128 v[104:107], v163 offset:5184
	ds_read_b128 v[108:111], v163 offset:6480
	ds_read_b128 v[100:103], v163 offset:7776
	ds_read_b128 v[96:99], v163 offset:9072
	ds_read_b128 v[92:95], v163 offset:10368
	ds_read_b128 v[112:115], v163 offset:11664
	ds_read_b128 v[116:119], v163 offset:12960
.LBB0_3:
	s_or_b64 exec, exec, s[0:1]
	v_mov_b32_e32 v0, 57
	v_mul_lo_u16_sdwa v0, v160, v0 dst_sel:DWORD dst_unused:UNUSED_PAD src0_sel:BYTE_0 src1_sel:DWORD
	v_lshrrev_b16_e32 v218, 9, v0
	v_mul_lo_u16_e32 v0, 9, v218
	v_sub_u16_e32 v219, v160, v0
	v_mov_b32_e32 v0, 10
	v_mul_u32_u24_sdwa v0, v219, v0 dst_sel:DWORD dst_unused:UNUSED_PAD src0_sel:BYTE_0 src1_sel:DWORD
	v_lshlrev_b32_e32 v0, 4, v0
	global_load_dwordx4 v[36:39], v0, s[10:11]
	global_load_dwordx4 v[40:43], v0, s[10:11] offset:16
	global_load_dwordx4 v[44:47], v0, s[10:11] offset:32
	;; [unrolled: 1-line block ×9, first 2 shown]
	s_mov_b32 s14, 0xf8bb580b
	s_mov_b32 s0, 0x8764f0ba
	;; [unrolled: 1-line block ×26, first 2 shown]
	s_waitcnt lgkmcnt(0)
	s_barrier
	s_waitcnt vmcnt(9)
	v_mul_f64 v[120:121], v[82:83], v[38:39]
	v_mul_f64 v[124:125], v[80:81], v[38:39]
	s_waitcnt vmcnt(8)
	v_mul_f64 v[122:123], v[86:87], v[42:43]
	v_mul_f64 v[126:127], v[84:85], v[42:43]
	s_waitcnt vmcnt(7)
	v_mul_f64 v[146:147], v[90:91], v[46:47]
	s_waitcnt vmcnt(6)
	;; [unrolled: 2-line block ×3, first 2 shown]
	v_mul_f64 v[136:137], v[96:97], v[66:67]
	v_mul_f64 v[152:153], v[102:103], v[70:71]
	;; [unrolled: 1-line block ×3, first 2 shown]
	s_waitcnt vmcnt(0)
	v_mul_f64 v[164:165], v[118:119], v[54:55]
	v_mul_f64 v[144:145], v[116:117], v[54:55]
	;; [unrolled: 1-line block ×5, first 2 shown]
	v_fma_f64 v[142:143], v[80:81], v[36:37], -v[120:121]
	v_fmac_f64_e32 v[124:125], v[82:83], v[36:37]
	v_fmac_f64_e32 v[136:137], v[98:99], v[64:65]
	v_fma_f64 v[98:99], v[116:117], v[52:53], -v[164:165]
	v_fmac_f64_e32 v[144:145], v[118:119], v[52:53]
	v_mul_f64 v[128:129], v[88:89], v[46:47]
	v_mul_f64 v[130:131], v[104:105], v[50:51]
	;; [unrolled: 1-line block ×4, first 2 shown]
	v_fma_f64 v[84:85], v[84:85], v[40:41], -v[122:123]
	v_fmac_f64_e32 v[126:127], v[86:87], v[40:41]
	v_fma_f64 v[86:87], v[88:89], v[44:45], -v[146:147]
	v_fma_f64 v[88:89], v[104:105], v[48:49], -v[148:149]
	;; [unrolled: 1-line block ×3, first 2 shown]
	v_fmac_f64_e32 v[138:139], v[94:95], v[56:57]
	v_fma_f64 v[94:95], v[112:113], v[60:61], -v[158:159]
	v_fmac_f64_e32 v[140:141], v[114:115], v[60:61]
	v_add_f64 v[152:153], v[142:143], -v[98:99]
	v_add_f64 v[158:159], v[124:125], -v[144:145]
	v_mul_f64 v[150:151], v[110:111], v[74:75]
	v_fmac_f64_e32 v[128:129], v[90:91], v[44:45]
	v_fmac_f64_e32 v[130:131], v[106:107], v[48:49]
	;; [unrolled: 1-line block ×3, first 2 shown]
	v_fma_f64 v[96:97], v[96:97], v[64:65], -v[154:155]
	v_fma_f64 v[92:93], v[92:93], v[56:57], -v[156:157]
	v_add_f64 v[118:119], v[142:143], v[98:99]
	v_add_f64 v[170:171], v[124:125], v[144:145]
	v_add_f64 v[154:155], v[84:85], -v[94:95]
	v_add_f64 v[166:167], v[126:127], -v[140:141]
	v_mul_f64 v[106:107], v[158:159], s[14:15]
	v_mul_f64 v[110:111], v[152:153], s[14:15]
	;; [unrolled: 1-line block ×3, first 2 shown]
	v_fma_f64 v[90:91], v[108:109], v[72:73], -v[150:151]
	v_add_f64 v[146:147], v[84:85], v[94:95]
	v_add_f64 v[174:175], v[126:127], v[140:141]
	v_add_f64 v[168:169], v[128:129], -v[138:139]
	v_mul_f64 v[108:109], v[166:167], s[18:19]
	v_mul_f64 v[116:117], v[154:155], s[18:19]
	v_fma_f64 v[80:81], s[0:1], v[118:119], v[106:107]
	v_fma_f64 v[82:83], v[170:171], s[0:1], -v[110:111]
	v_add_f64 v[176:177], v[86:87], -v[92:93]
	v_fmac_f64_e32 v[134:135], v[102:103], v[68:69]
	v_add_f64 v[150:151], v[86:87], v[92:93]
	v_mul_f64 v[114:115], v[168:169], s[20:21]
	v_fma_f64 v[100:101], s[12:13], v[146:147], v[108:109]
	v_fma_f64 v[102:103], v[174:175], s[12:13], -v[116:117]
	v_add_f64 v[80:81], v[76:77], v[80:81]
	v_add_f64 v[82:83], v[78:79], v[82:83]
	;; [unrolled: 1-line block ×3, first 2 shown]
	v_mul_f64 v[148:149], v[176:177], s[20:21]
	v_add_f64 v[196:197], v[130:131], -v[136:137]
	v_fma_f64 v[112:113], s[16:17], v[150:151], v[114:115]
	v_add_f64 v[80:81], v[100:101], v[80:81]
	v_add_f64 v[82:83], v[102:103], v[82:83]
	v_fma_f64 v[100:101], v[188:189], s[16:17], -v[148:149]
	v_add_f64 v[178:179], v[88:89], v[96:97]
	v_mul_f64 v[156:157], v[196:197], s[26:27]
	v_add_f64 v[186:187], v[88:89], -v[96:97]
	v_add_f64 v[80:81], v[112:113], v[80:81]
	v_add_f64 v[82:83], v[100:101], v[82:83]
	v_fma_f64 v[100:101], s[24:25], v[178:179], v[156:157]
	v_add_f64 v[210:211], v[130:131], v[136:137]
	v_mul_f64 v[164:165], v[186:187], s[26:27]
	v_add_f64 v[214:215], v[132:133], -v[134:135]
	v_add_f64 v[80:81], v[100:101], v[80:81]
	v_fma_f64 v[100:101], v[210:211], s[24:25], -v[164:165]
	v_add_f64 v[192:193], v[90:91], v[104:105]
	v_mul_f64 v[172:173], v[214:215], s[34:35]
	v_add_f64 v[208:209], v[90:91], -v[104:105]
	v_add_f64 v[82:83], v[100:101], v[82:83]
	v_fma_f64 v[100:101], s[28:29], v[192:193], v[172:173]
	v_add_f64 v[216:217], v[132:133], v[134:135]
	v_mul_f64 v[180:181], v[208:209], s[34:35]
	v_add_f64 v[100:101], v[100:101], v[80:81]
	v_fma_f64 v[80:81], v[216:217], s[28:29], -v[180:181]
	v_mul_f64 v[182:183], v[158:159], s[18:19]
	v_add_f64 v[102:103], v[80:81], v[82:83]
	v_fma_f64 v[80:81], s[12:13], v[118:119], v[182:183]
	v_mul_f64 v[184:185], v[166:167], s[26:27]
	v_add_f64 v[80:81], v[76:77], v[80:81]
	v_fma_f64 v[82:83], s[24:25], v[146:147], v[184:185]
	v_mul_f64 v[194:195], v[152:153], s[18:19]
	v_add_f64 v[80:81], v[82:83], v[80:81]
	v_fma_f64 v[82:83], v[170:171], s[12:13], -v[194:195]
	v_mul_f64 v[198:199], v[154:155], s[26:27]
	v_add_f64 v[82:83], v[78:79], v[82:83]
	v_fma_f64 v[112:113], v[174:175], s[24:25], -v[198:199]
	v_mul_f64 v[190:191], v[168:169], s[30:31]
	v_add_f64 v[82:83], v[112:113], v[82:83]
	v_fma_f64 v[112:113], s[28:29], v[150:151], v[190:191]
	v_mul_f64 v[202:203], v[176:177], s[30:31]
	v_add_f64 v[80:81], v[112:113], v[80:81]
	v_fma_f64 v[112:113], v[188:189], s[28:29], -v[202:203]
	v_mul_f64 v[200:201], v[196:197], s[36:37]
	v_add_f64 v[82:83], v[112:113], v[82:83]
	v_fma_f64 v[112:113], s[16:17], v[178:179], v[200:201]
	;; [unrolled: 6-line block ×3, first 2 shown]
	v_mul_f64 v[212:213], v[208:209], s[38:39]
	v_add_f64 v[120:121], v[112:113], v[80:81]
	v_fma_f64 v[80:81], v[216:217], s[0:1], -v[212:213]
	v_add_f64 v[122:123], v[80:81], v[82:83]
	v_mov_b32_e32 v113, 0
	s_and_saveexec_b64 s[22:23], vcc
	s_cbranch_execz .LBB0_5
; %bb.4:
	v_accvgpr_write_b32 a16, v238
	v_accvgpr_write_b32 a17, v239
	;; [unrolled: 1-line block ×6, first 2 shown]
	v_mul_f64 v[238:239], v[170:171], s[28:29]
	v_accvgpr_write_b32 a21, v243
	v_accvgpr_write_b32 a22, v244
	v_accvgpr_write_b32 a23, v245
	v_accvgpr_write_b32 a4, v226
	v_accvgpr_write_b32 a9, v231
	v_accvgpr_write_b32 a10, v232
	v_accvgpr_write_b32 a11, v233
	v_mul_f64 v[230:231], v[174:175], s[0:1]
	v_fma_f64 v[244:245], s[30:31], v[152:153], v[238:239]
	v_mul_f64 v[12:13], v[158:159], s[34:35]
	v_accvgpr_write_b32 a0, v222
	v_accvgpr_write_b32 a5, v227
	v_accvgpr_write_b32 a6, v228
	v_accvgpr_write_b32 a7, v229
	v_mul_f64 v[226:227], v[188:189], s[24:25]
	s_mov_b32 s43, 0x3fe82f19
	s_mov_b32 s42, s26
	v_fma_f64 v[232:233], s[14:15], v[154:155], v[230:231]
	v_add_f64 v[244:245], v[78:79], v[244:245]
	v_mul_f64 v[8:9], v[166:167], s[38:39]
	v_fma_f64 v[14:15], s[28:29], v[118:119], v[12:13]
	v_accvgpr_write_b32 a1, v223
	v_accvgpr_write_b32 a2, v224
	;; [unrolled: 1-line block ×3, first 2 shown]
	v_mul_f64 v[224:225], v[210:211], s[12:13]
	v_fma_f64 v[228:229], s[42:43], v[176:177], v[226:227]
	v_add_f64 v[232:233], v[232:233], v[244:245]
	s_mov_b32 s41, 0x3fed1bb4
	s_mov_b32 s40, s18
	v_mul_f64 v[4:5], v[168:169], s[26:27]
	v_fma_f64 v[10:11], s[0:1], v[146:147], v[8:9]
	v_add_f64 v[14:15], v[76:77], v[14:15]
	v_mul_f64 v[222:223], v[216:217], s[16:17]
	v_fma_f64 v[82:83], s[18:19], v[186:187], v[224:225]
	v_add_f64 v[228:229], v[228:229], v[232:233]
	;; [unrolled: 3-line block ×3, first 2 shown]
	v_fma_f64 v[80:81], s[36:37], v[208:209], v[222:223]
	v_add_f64 v[82:83], v[82:83], v[228:229]
	v_mul_f64 v[228:229], v[214:215], s[20:21]
	v_fma_f64 v[244:245], s[12:13], v[178:179], v[232:233]
	v_add_f64 v[6:7], v[6:7], v[10:11]
	v_add_f64 v[82:83], v[80:81], v[82:83]
	v_fma_f64 v[80:81], s[16:17], v[192:193], v[228:229]
	v_add_f64 v[6:7], v[244:245], v[6:7]
	v_fmac_f64_e32 v[238:239], s[34:35], v[152:153]
	v_add_f64 v[80:81], v[80:81], v[6:7]
	v_fmac_f64_e32 v[230:231], s[38:39], v[154:155]
	;; [unrolled: 2-line block ×4, first 2 shown]
	v_add_f64 v[6:7], v[226:227], v[6:7]
	v_fma_f64 v[12:13], v[118:119], s[28:29], -v[12:13]
	v_fmac_f64_e32 v[222:223], s[20:21], v[208:209]
	v_add_f64 v[6:7], v[224:225], v[6:7]
	v_fma_f64 v[10:11], v[178:179], s[12:13], -v[232:233]
	v_fma_f64 v[8:9], v[146:147], s[0:1], -v[8:9]
	v_add_f64 v[12:13], v[76:77], v[12:13]
	v_mul_f64 v[232:233], v[170:171], s[24:25]
	v_add_f64 v[224:225], v[222:223], v[6:7]
	v_fma_f64 v[6:7], v[192:193], s[16:17], -v[228:229]
	v_fma_f64 v[4:5], v[150:151], s[24:25], -v[4:5]
	v_add_f64 v[8:9], v[8:9], v[12:13]
	v_mul_f64 v[230:231], v[174:175], s[16:17]
	v_fma_f64 v[228:229], s[42:43], v[152:153], v[232:233]
	v_add_f64 v[4:5], v[4:5], v[8:9]
	v_mul_f64 v[12:13], v[188:189], s[0:1]
	v_fma_f64 v[226:227], s[20:21], v[154:155], v[230:231]
	v_add_f64 v[228:229], v[78:79], v[228:229]
	v_mul_f64 v[20:21], v[158:159], s[26:27]
	v_add_f64 v[4:5], v[10:11], v[4:5]
	v_mul_f64 v[8:9], v[210:211], s[28:29]
	v_fma_f64 v[14:15], s[38:39], v[176:177], v[12:13]
	v_add_f64 v[226:227], v[226:227], v[228:229]
	v_mul_f64 v[16:17], v[166:167], s[36:37]
	v_fma_f64 v[22:23], s[24:25], v[118:119], v[20:21]
	v_mul_f64 v[0:1], v[118:119], s[0:1]
	v_add_f64 v[222:223], v[6:7], v[4:5]
	v_mul_f64 v[4:5], v[216:217], s[12:13]
	v_fma_f64 v[10:11], s[30:31], v[186:187], v[8:9]
	v_add_f64 v[14:15], v[14:15], v[226:227]
	v_mul_f64 v[238:239], v[168:169], s[14:15]
	v_fma_f64 v[18:19], s[16:17], v[146:147], v[16:17]
	v_add_f64 v[22:23], v[76:77], v[22:23]
	v_accvgpr_write_b32 a27, v1
	v_fma_f64 v[6:7], s[18:19], v[208:209], v[4:5]
	v_add_f64 v[10:11], v[10:11], v[14:15]
	v_mul_f64 v[14:15], v[196:197], s[34:35]
	v_fma_f64 v[244:245], s[0:1], v[150:151], v[238:239]
	v_add_f64 v[18:19], v[18:19], v[22:23]
	v_accvgpr_write_b32 a26, v0
	v_mul_f64 v[0:1], v[170:171], s[0:1]
	v_add_f64 v[228:229], v[6:7], v[10:11]
	v_mul_f64 v[6:7], v[214:215], s[40:41]
	v_fma_f64 v[226:227], s[28:29], v[178:179], v[14:15]
	v_add_f64 v[18:19], v[244:245], v[18:19]
	v_accvgpr_write_b32 a33, v1
	v_fma_f64 v[10:11], s[12:13], v[192:193], v[6:7]
	v_add_f64 v[18:19], v[226:227], v[18:19]
	v_fmac_f64_e32 v[232:233], s[26:27], v[152:153]
	v_accvgpr_write_b32 a32, v0
	v_mul_f64 v[0:1], v[146:147], s[12:13]
	v_add_f64 v[226:227], v[10:11], v[18:19]
	v_fmac_f64_e32 v[230:231], s[36:37], v[154:155]
	v_add_f64 v[10:11], v[78:79], v[232:233]
	v_accvgpr_write_b32 a29, v1
	v_fmac_f64_e32 v[12:13], s[14:15], v[176:177]
	v_add_f64 v[10:11], v[230:231], v[10:11]
	v_accvgpr_write_b32 a28, v0
	v_mul_f64 v[0:1], v[174:175], s[12:13]
	v_fmac_f64_e32 v[8:9], s[34:35], v[186:187]
	v_add_f64 v[10:11], v[12:13], v[10:11]
	v_fma_f64 v[12:13], v[118:119], s[24:25], -v[20:21]
	v_accvgpr_write_b32 a37, v1
	v_fmac_f64_e32 v[4:5], s[40:41], v[208:209]
	v_add_f64 v[8:9], v[8:9], v[10:11]
	v_fma_f64 v[10:11], v[146:147], s[16:17], -v[16:17]
	v_add_f64 v[12:13], v[76:77], v[12:13]
	v_mul_f64 v[20:21], v[170:171], s[16:17]
	v_accvgpr_write_b32 a36, v0
	v_mul_f64 v[0:1], v[150:151], s[16:17]
	v_add_f64 v[232:233], v[4:5], v[8:9]
	v_fma_f64 v[8:9], v[150:151], s[0:1], -v[238:239]
	v_add_f64 v[10:11], v[10:11], v[12:13]
	v_mul_f64 v[16:17], v[174:175], s[28:29]
	v_fma_f64 v[22:23], s[36:37], v[152:153], v[20:21]
	v_accvgpr_write_b32 a31, v1
	v_fma_f64 v[4:5], v[192:193], s[12:13], -v[6:7]
	v_fma_f64 v[6:7], v[178:179], s[28:29], -v[14:15]
	v_add_f64 v[8:9], v[8:9], v[10:11]
	v_mul_f64 v[12:13], v[188:189], s[12:13]
	v_fma_f64 v[18:19], s[34:35], v[154:155], v[16:17]
	v_add_f64 v[22:23], v[78:79], v[22:23]
	v_mul_f64 v[158:159], v[158:159], s[20:21]
	v_accvgpr_write_b32 a30, v0
	v_mul_f64 v[0:1], v[188:189], s[16:17]
	v_mov_b32_e32 v112, v218
	v_accvgpr_write_b32 a24, v219
	v_mul_f64 v[218:219], v[188:189], s[28:29]
	v_add_f64 v[6:7], v[6:7], v[8:9]
	v_mul_f64 v[8:9], v[210:211], s[0:1]
	v_fma_f64 v[14:15], s[18:19], v[176:177], v[12:13]
	v_add_f64 v[18:19], v[18:19], v[22:23]
	v_mul_f64 v[166:167], v[166:167], s[30:31]
	v_fma_f64 v[188:189], s[16:17], v[118:119], v[158:159]
	v_mul_f64 v[248:249], v[174:175], s[24:25]
	v_add_f64 v[230:231], v[4:5], v[6:7]
	v_mul_f64 v[4:5], v[216:217], s[24:25]
	v_fma_f64 v[10:11], s[38:39], v[186:187], v[8:9]
	v_add_f64 v[14:15], v[14:15], v[18:19]
	v_mul_f64 v[22:23], v[168:169], s[40:41]
	v_fma_f64 v[174:175], s[28:29], v[146:147], v[166:167]
	v_add_f64 v[188:189], v[76:77], v[188:189]
	v_fma_f64 v[6:7], s[42:43], v[208:209], v[4:5]
	v_add_f64 v[10:11], v[10:11], v[14:15]
	v_mul_f64 v[14:15], v[196:197], s[14:15]
	v_fma_f64 v[168:169], s[12:13], v[150:151], v[22:23]
	v_add_f64 v[174:175], v[174:175], v[188:189]
	v_mul_f64 v[240:241], v[170:171], s[12:13]
	v_add_f64 v[170:171], v[6:7], v[10:11]
	v_mul_f64 v[6:7], v[214:215], s[26:27]
	v_fma_f64 v[18:19], s[0:1], v[178:179], v[14:15]
	v_add_f64 v[168:169], v[168:169], v[174:175]
	v_fma_f64 v[10:11], s[24:25], v[192:193], v[6:7]
	v_add_f64 v[18:19], v[18:19], v[168:169]
	v_fmac_f64_e32 v[20:21], s[20:21], v[152:153]
	v_add_f64 v[168:169], v[10:11], v[18:19]
	v_fmac_f64_e32 v[16:17], s[30:31], v[154:155]
	;; [unrolled: 2-line block ×4, first 2 shown]
	v_add_f64 v[10:11], v[12:13], v[10:11]
	v_fma_f64 v[12:13], v[118:119], s[16:17], -v[158:159]
	v_fmac_f64_e32 v[4:5], s[26:27], v[208:209]
	v_add_f64 v[8:9], v[8:9], v[10:11]
	v_fma_f64 v[10:11], v[146:147], s[28:29], -v[166:167]
	v_add_f64 v[12:13], v[76:77], v[12:13]
	v_add_f64 v[152:153], v[4:5], v[8:9]
	v_fma_f64 v[8:9], v[150:151], s[12:13], -v[22:23]
	v_add_f64 v[10:11], v[10:11], v[12:13]
	v_add_f64 v[12:13], v[194:195], v[240:241]
	v_fma_f64 v[4:5], v[192:193], s[24:25], -v[6:7]
	v_fma_f64 v[6:7], v[178:179], s[0:1], -v[14:15]
	v_add_f64 v[8:9], v[8:9], v[10:11]
	v_add_f64 v[10:11], v[198:199], v[248:249]
	;; [unrolled: 1-line block ×3, first 2 shown]
	v_mul_f64 v[252:253], v[118:119], s[12:13]
	v_accvgpr_write_b32 a41, v1
	v_accvgpr_write_b32 a12, v234
	v_mul_f64 v[242:243], v[210:211], s[16:17]
	v_add_f64 v[6:7], v[6:7], v[8:9]
	v_add_f64 v[8:9], v[202:203], v[218:219]
	;; [unrolled: 1-line block ×3, first 2 shown]
	v_mul_f64 v[246:247], v[146:147], s[24:25]
	v_accvgpr_write_b32 a40, v0
	v_mul_f64 v[254:255], v[150:151], s[28:29]
	v_mul_f64 v[0:1], v[178:179], s[24:25]
	v_accvgpr_write_b32 a13, v235
	v_accvgpr_write_b32 a14, v236
	;; [unrolled: 1-line block ×3, first 2 shown]
	v_mul_f64 v[236:237], v[216:217], s[0:1]
	v_add_f64 v[150:151], v[4:5], v[6:7]
	v_add_f64 v[6:7], v[206:207], v[242:243]
	;; [unrolled: 1-line block ×3, first 2 shown]
	v_add_f64 v[10:11], v[252:253], -v[182:183]
	v_accvgpr_write_b32 a35, v1
	v_add_f64 v[4:5], v[212:213], v[236:237]
	v_add_f64 v[6:7], v[6:7], v[8:9]
	v_add_f64 v[8:9], v[246:247], -v[184:185]
	v_add_f64 v[10:11], v[76:77], v[10:11]
	v_accvgpr_write_b32 a34, v0
	v_mul_f64 v[0:1], v[178:179], s[16:17]
	v_add_f64 v[176:177], v[4:5], v[6:7]
	v_add_f64 v[6:7], v[254:255], -v[190:191]
	v_add_f64 v[8:9], v[8:9], v[10:11]
	v_mul_f64 v[250:251], v[192:193], s[0:1]
	v_add_f64 v[0:1], v[0:1], -v[200:201]
	v_add_f64 v[6:7], v[6:7], v[8:9]
	v_accvgpr_read_b32 v8, a32
	v_add_f64 v[4:5], v[250:251], -v[204:205]
	v_add_f64 v[0:1], v[0:1], v[6:7]
	v_accvgpr_read_b32 v6, a36
	v_accvgpr_read_b32 v9, a33
	v_mul_f64 v[2:3], v[192:193], s[28:29]
	v_add_f64 v[174:175], v[4:5], v[0:1]
	v_accvgpr_read_b32 v4, a40
	v_accvgpr_read_b32 v7, a37
	v_add_f64 v[8:9], v[110:111], v[8:9]
	v_accvgpr_write_b32 a39, v3
	v_accvgpr_read_b32 v5, a41
	v_add_f64 v[6:7], v[116:117], v[6:7]
	v_add_f64 v[8:9], v[78:79], v[8:9]
	v_mul_f64 v[234:235], v[210:211], s[24:25]
	v_accvgpr_write_b32 a38, v2
	v_mul_f64 v[2:3], v[216:217], s[28:29]
	v_add_f64 v[4:5], v[148:149], v[4:5]
	v_add_f64 v[6:7], v[6:7], v[8:9]
	v_accvgpr_read_b32 v8, a26
	v_add_f64 v[0:1], v[180:181], v[2:3]
	v_add_f64 v[2:3], v[164:165], v[234:235]
	;; [unrolled: 1-line block ×3, first 2 shown]
	v_accvgpr_read_b32 v6, a28
	v_accvgpr_read_b32 v9, a27
	v_add_f64 v[2:3], v[2:3], v[4:5]
	v_accvgpr_read_b32 v4, a30
	v_accvgpr_read_b32 v7, a29
	v_add_f64 v[8:9], v[8:9], -v[106:107]
	v_add_f64 v[110:111], v[0:1], v[2:3]
	v_accvgpr_read_b32 v2, a34
	v_accvgpr_read_b32 v5, a31
	v_add_f64 v[6:7], v[6:7], -v[108:109]
	;; [unrolled: 4-line block ×3, first 2 shown]
	v_add_f64 v[6:7], v[6:7], v[8:9]
	v_accvgpr_read_b32 v1, a39
	v_add_f64 v[2:3], v[2:3], -v[156:157]
	v_add_f64 v[4:5], v[4:5], v[6:7]
	v_add_f64 v[0:1], v[0:1], -v[172:173]
	v_add_f64 v[2:3], v[2:3], v[4:5]
	v_add_f64 v[108:109], v[0:1], v[2:3]
	;; [unrolled: 1-line block ×20, first 2 shown]
	v_mov_b32_e32 v218, v112
	v_add_f64 v[0:1], v[0:1], v[94:95]
	v_accvgpr_read_b32 v219, a24
	v_add_f64 v[76:77], v[0:1], v[98:99]
	v_mul_u32_u24_e32 v0, 0x63, v218
	v_add_u32_sdwa v0, v0, v219 dst_sel:DWORD dst_unused:UNUSED_PAD src0_sel:DWORD src1_sel:BYTE_0
	v_lshl_add_u32 v0, v0, 4, v220
	v_accvgpr_read_b32 v245, a23
	v_accvgpr_read_b32 v241, a19
	;; [unrolled: 1-line block ×3, first 2 shown]
	ds_write_b128 v0, v[76:79]
	ds_write_b128 v0, v[108:111] offset:144
	ds_write_b128 v0, v[174:177] offset:288
	;; [unrolled: 1-line block ×4, first 2 shown]
	v_accvgpr_read_b32 v233, a11
	ds_write_b128 v0, v[222:225] offset:720
	v_accvgpr_read_b32 v225, a3
	ds_write_b128 v0, v[80:83] offset:864
	ds_write_b128 v0, v[226:229] offset:1008
	v_accvgpr_read_b32 v229, a7
	v_accvgpr_read_b32 v244, a22
	;; [unrolled: 1-line block ×19, first 2 shown]
	ds_write_b128 v0, v[168:171] offset:1152
	ds_write_b128 v0, v[120:123] offset:1296
	;; [unrolled: 1-line block ×3, first 2 shown]
.LBB0_5:
	s_or_b64 exec, exec, s[22:23]
	s_mov_b64 s[0:1], 0xc6
	s_mov_b32 s12, 0xa57f
	v_lshl_add_u64 v[114:115], v[160:161], 0, s[0:1]
	v_lshlrev_b32_e32 v104, 5, v160
	v_mul_u32_u24_sdwa v0, v114, s12 dst_sel:DWORD dst_unused:UNUSED_PAD src0_sel:WORD_0 src1_sel:DWORD
	s_waitcnt lgkmcnt(0)
	s_barrier
	global_load_dwordx4 v[80:83], v104, s[10:11] offset:1440
	global_load_dwordx4 v[76:79], v104, s[10:11] offset:1456
	v_lshrrev_b32_e32 v0, 22, v0
	v_mul_lo_u16_e32 v0, 0x63, v0
	v_lshlrev_b32_e32 v112, 4, v160
	v_sub_u16_e32 v115, v114, v0
	v_lshl_add_u64 v[128:129], s[8:9], 0, v[112:113]
	v_lshlrev_b16_e32 v112, 5, v115
	v_lshl_add_u64 v[0:1], s[10:11], 0, v[112:113]
	global_load_dwordx4 v[88:91], v[0:1], off offset:1440
	global_load_dwordx4 v[84:87], v[0:1], off offset:1456
	ds_read_b128 v[94:97], v163
	ds_read_b128 v[106:109], v163 offset:1584
	ds_read_b128 v[116:119], v163 offset:9504
	;; [unrolled: 1-line block ×8, first 2 shown]
	s_mov_b32 s8, 0xe8584caa
	s_mov_b32 s9, 0x3febb67a
	;; [unrolled: 1-line block ×4, first 2 shown]
	v_mov_b32_e32 v105, v113
	v_lshl_add_u64 v[92:93], s[10:11], 0, v[104:105]
	s_movk_i32 s16, 0x1000
	s_mov_b64 s[14:15], 0x1200
	v_lshl_add_u32 v161, v115, 4, v220
	v_add_u32_e32 v112, 0xc60, v104
	s_waitcnt lgkmcnt(0)
	s_barrier
	v_lshl_add_u32 v180, v160, 4, v220
	s_mov_b32 s18, 0x748a0bf8
	s_mov_b32 s20, 0x42522d1b
	;; [unrolled: 1-line block ×4, first 2 shown]
	s_waitcnt vmcnt(3)
	v_mul_f64 v[2:3], v[130:131], v[82:83]
	s_waitcnt vmcnt(2)
	v_mul_f64 v[6:7], v[116:117], v[78:79]
	v_mul_f64 v[0:1], v[132:133], v[82:83]
	;; [unrolled: 1-line block ×3, first 2 shown]
	v_fmac_f64_e32 v[2:3], v[132:133], v[80:81]
	v_fmac_f64_e32 v[6:7], v[118:119], v[76:77]
	v_mul_f64 v[8:9], v[140:141], v[82:83]
	v_mul_f64 v[10:11], v[138:139], v[82:83]
	;; [unrolled: 1-line block ×4, first 2 shown]
	v_fma_f64 v[0:1], v[130:131], v[80:81], -v[0:1]
	v_fma_f64 v[4:5], v[116:117], v[76:77], -v[4:5]
	v_add_f64 v[20:21], v[2:3], -v[6:7]
	v_add_f64 v[22:23], v[96:97], v[2:3]
	v_add_f64 v[2:3], v[2:3], v[6:7]
	v_fma_f64 v[8:9], v[138:139], v[80:81], -v[8:9]
	v_fmac_f64_e32 v[10:11], v[140:141], v[80:81]
	v_fma_f64 v[12:13], v[124:125], v[76:77], -v[12:13]
	v_fmac_f64_e32 v[14:15], v[126:127], v[76:77]
	v_add_f64 v[16:17], v[94:95], v[0:1]
	v_add_f64 v[18:19], v[0:1], v[4:5]
	v_add_f64 v[0:1], v[0:1], -v[4:5]
	v_fmac_f64_e32 v[96:97], -0.5, v[2:3]
	v_add_f64 v[110:111], v[8:9], v[12:13]
	v_add_f64 v[140:141], v[10:11], -v[14:15]
	v_add_f64 v[126:127], v[108:109], v[10:11]
	v_add_f64 v[10:11], v[10:11], v[14:15]
	v_fma_f64 v[132:133], s[12:13], v[0:1], v[96:97]
	v_fmac_f64_e32 v[96:97], s[8:9], v[0:1]
	s_waitcnt vmcnt(1)
	v_mul_f64 v[0:1], v[144:145], v[90:91]
	v_add_f64 v[98:99], v[106:107], v[8:9]
	v_add_f64 v[8:9], v[8:9], -v[12:13]
	v_add_f64 v[116:117], v[16:17], v[4:5]
	v_add_f64 v[118:119], v[22:23], v[6:7]
	v_fmac_f64_e32 v[106:107], -0.5, v[110:111]
	v_fmac_f64_e32 v[108:109], -0.5, v[10:11]
	v_mul_f64 v[2:3], v[142:143], v[90:91]
	s_waitcnt vmcnt(0)
	v_mul_f64 v[4:5], v[148:149], v[86:87]
	v_mul_f64 v[6:7], v[146:147], v[86:87]
	v_fma_f64 v[0:1], v[142:143], v[88:89], -v[0:1]
	v_fma_f64 v[138:139], s[8:9], v[140:141], v[106:107]
	v_fmac_f64_e32 v[106:107], s[12:13], v[140:141]
	v_fma_f64 v[140:141], s[12:13], v[8:9], v[108:109]
	v_fmac_f64_e32 v[108:109], s[8:9], v[8:9]
	v_fmac_f64_e32 v[2:3], v[144:145], v[88:89]
	v_fma_f64 v[4:5], v[146:147], v[84:85], -v[4:5]
	v_fmac_f64_e32 v[6:7], v[148:149], v[84:85]
	v_add_f64 v[8:9], v[134:135], v[0:1]
	v_add_f64 v[124:125], v[98:99], v[12:13]
	v_add_f64 v[12:13], v[2:3], -v[6:7]
	v_add_f64 v[142:143], v[8:9], v[4:5]
	v_add_f64 v[8:9], v[136:137], v[2:3]
	;; [unrolled: 1-line block ×3, first 2 shown]
	v_fmac_f64_e32 v[94:95], -0.5, v[18:19]
	v_add_f64 v[10:11], v[0:1], v[4:5]
	v_fmac_f64_e32 v[136:137], -0.5, v[2:3]
	v_add_f64 v[0:1], v[0:1], -v[4:5]
	v_add_co_u32_e64 v2, s[0:1], s16, v92
	v_fma_f64 v[130:131], s[8:9], v[20:21], v[94:95]
	v_fmac_f64_e32 v[94:95], s[12:13], v[20:21]
	v_fmac_f64_e32 v[134:135], -0.5, v[10:11]
	v_add_f64 v[144:145], v[8:9], v[6:7]
	v_fma_f64 v[148:149], s[12:13], v[0:1], v[136:137]
	v_fmac_f64_e32 v[136:137], s[8:9], v[0:1]
	v_lshl_add_u64 v[0:1], v[92:93], 0, s[14:15]
	v_addc_co_u32_e64 v3, s[0:1], 0, v93, s[0:1]
	v_add_f64 v[126:127], v[126:127], v[14:15]
	v_fma_f64 v[146:147], s[8:9], v[12:13], v[134:135]
	v_fmac_f64_e32 v[134:135], s[12:13], v[12:13]
	ds_write_b128 v163, v[116:119]
	ds_write_b128 v163, v[130:133] offset:1584
	ds_write_b128 v163, v[94:97] offset:3168
	;; [unrolled: 1-line block ×8, first 2 shown]
	s_waitcnt lgkmcnt(0)
	s_barrier
	global_load_dwordx4 v[92:95], v[2:3], off offset:512
	global_load_dwordx4 v[96:99], v[0:1], off offset:16
	v_lshl_add_u64 v[0:1], s[10:11], 0, v[112:113]
	v_lshl_add_u64 v[2:3], v[0:1], 0, s[14:15]
	v_add_co_u32_e64 v0, s[0:1], s16, v0
	v_lshlrev_b32_e32 v112, 5, v114
	s_nop 0
	v_addc_co_u32_e64 v1, s[0:1], 0, v1, s[0:1]
	global_load_dwordx4 v[104:107], v[0:1], off offset:512
	global_load_dwordx4 v[108:111], v[2:3], off offset:16
	v_lshl_add_u64 v[0:1], s[10:11], 0, v[112:113]
	v_add_co_u32_e64 v2, s[0:1], s16, v0
	s_mov_b32 s10, 0x8c811c17
	s_nop 0
	v_addc_co_u32_e64 v3, s[0:1], 0, v1, s[0:1]
	global_load_dwordx4 v[112:115], v[2:3], off offset:512
	v_lshl_add_u64 v[0:1], v[0:1], 0, s[14:15]
	global_load_dwordx4 v[116:119], v[0:1], off offset:16
	ds_read_b128 v[124:127], v163
	ds_read_b128 v[130:133], v163 offset:1584
	ds_read_b128 v[134:137], v163 offset:9504
	ds_read_b128 v[138:141], v163 offset:11088
	ds_read_b128 v[142:145], v163 offset:4752
	ds_read_b128 v[146:149], v163 offset:3168
	ds_read_b128 v[150:153], v163 offset:6336
	ds_read_b128 v[154:157], v163 offset:7920
	ds_read_b128 v[164:167], v163 offset:12672
	s_movk_i32 s0, 0x3000
	s_mov_b32 s14, 0xa2cf5039
	s_mov_b32 s15, 0x3fe8836f
	;; [unrolled: 1-line block ×5, first 2 shown]
	s_waitcnt vmcnt(5) lgkmcnt(4)
	v_mul_f64 v[0:1], v[144:145], v[94:95]
	s_waitcnt vmcnt(4)
	v_mul_f64 v[4:5], v[136:137], v[98:99]
	v_mul_f64 v[2:3], v[142:143], v[94:95]
	;; [unrolled: 1-line block ×3, first 2 shown]
	v_fma_f64 v[0:1], v[142:143], v[92:93], -v[0:1]
	v_fma_f64 v[4:5], v[134:135], v[96:97], -v[4:5]
	v_fmac_f64_e32 v[2:3], v[144:145], v[92:93]
	v_fmac_f64_e32 v[6:7], v[136:137], v[96:97]
	v_add_f64 v[136:137], v[0:1], v[4:5]
	s_waitcnt vmcnt(2)
	v_mul_f64 v[12:13], v[140:141], v[110:111]
	v_add_f64 v[134:135], v[124:125], v[0:1]
	v_fmac_f64_e32 v[124:125], -0.5, v[136:137]
	v_add_f64 v[136:137], v[2:3], -v[6:7]
	s_waitcnt lgkmcnt(2)
	v_mul_f64 v[8:9], v[152:153], v[106:107]
	v_mul_f64 v[14:15], v[138:139], v[110:111]
	v_fma_f64 v[12:13], v[138:139], v[108:109], -v[12:13]
	v_fma_f64 v[138:139], s[8:9], v[136:137], v[124:125]
	v_fmac_f64_e32 v[124:125], s[12:13], v[136:137]
	v_add_f64 v[136:137], v[126:127], v[2:3]
	v_add_f64 v[2:3], v[2:3], v[6:7]
	v_fma_f64 v[8:9], v[150:151], v[104:105], -v[8:9]
	v_fmac_f64_e32 v[126:127], -0.5, v[2:3]
	v_add_f64 v[0:1], v[0:1], -v[4:5]
	v_mul_f64 v[10:11], v[150:151], v[106:107]
	v_fmac_f64_e32 v[14:15], v[140:141], v[108:109]
	v_fma_f64 v[140:141], s[12:13], v[0:1], v[126:127]
	v_fmac_f64_e32 v[126:127], s[8:9], v[0:1]
	v_add_f64 v[0:1], v[130:131], v[8:9]
	v_fmac_f64_e32 v[10:11], v[152:153], v[104:105]
	v_add_f64 v[142:143], v[0:1], v[12:13]
	v_add_f64 v[0:1], v[8:9], v[12:13]
	v_fmac_f64_e32 v[130:131], -0.5, v[0:1]
	v_add_f64 v[0:1], v[10:11], -v[14:15]
	v_fma_f64 v[150:151], s[8:9], v[0:1], v[130:131]
	v_fmac_f64_e32 v[130:131], s[12:13], v[0:1]
	v_add_f64 v[0:1], v[132:133], v[10:11]
	s_waitcnt vmcnt(1) lgkmcnt(1)
	v_mul_f64 v[16:17], v[156:157], v[114:115]
	v_add_f64 v[144:145], v[0:1], v[14:15]
	v_add_f64 v[0:1], v[10:11], v[14:15]
	s_waitcnt vmcnt(0) lgkmcnt(0)
	v_mul_f64 v[20:21], v[166:167], v[118:119]
	v_fma_f64 v[16:17], v[154:155], v[112:113], -v[16:17]
	v_fmac_f64_e32 v[132:133], -0.5, v[0:1]
	v_add_f64 v[0:1], v[8:9], -v[12:13]
	v_mul_f64 v[18:19], v[154:155], v[114:115]
	v_fma_f64 v[20:21], v[164:165], v[116:117], -v[20:21]
	v_mul_f64 v[22:23], v[164:165], v[118:119]
	v_fma_f64 v[152:153], s[12:13], v[0:1], v[132:133]
	v_fmac_f64_e32 v[132:133], s[8:9], v[0:1]
	v_add_f64 v[0:1], v[146:147], v[16:17]
	v_fmac_f64_e32 v[18:19], v[156:157], v[112:113]
	v_fmac_f64_e32 v[22:23], v[166:167], v[116:117]
	v_add_f64 v[154:155], v[0:1], v[20:21]
	v_add_f64 v[0:1], v[16:17], v[20:21]
	v_fmac_f64_e32 v[146:147], -0.5, v[0:1]
	v_add_f64 v[0:1], v[18:19], -v[22:23]
	v_fma_f64 v[164:165], s[8:9], v[0:1], v[146:147]
	v_fmac_f64_e32 v[146:147], s[12:13], v[0:1]
	v_add_f64 v[0:1], v[148:149], v[18:19]
	v_add_f64 v[156:157], v[0:1], v[22:23]
	;; [unrolled: 1-line block ×3, first 2 shown]
	v_fmac_f64_e32 v[148:149], -0.5, v[0:1]
	v_add_f64 v[0:1], v[16:17], -v[20:21]
	v_fma_f64 v[166:167], s[12:13], v[0:1], v[148:149]
	v_fmac_f64_e32 v[148:149], s[8:9], v[0:1]
	v_add_co_u32_e64 v0, s[0:1], s0, v128
	v_add_f64 v[134:135], v[134:135], v[4:5]
	v_add_f64 v[136:137], v[136:137], v[6:7]
	v_addc_co_u32_e64 v1, s[0:1], 0, v129, s[0:1]
	ds_write_b128 v163, v[134:137]
	ds_write_b128 v163, v[138:141] offset:4752
	ds_write_b128 v163, v[124:127] offset:9504
	;; [unrolled: 1-line block ×8, first 2 shown]
	s_waitcnt lgkmcnt(0)
	s_barrier
	global_load_dwordx4 v[124:127], v[0:1], off offset:1968
	s_mov_b64 s[0:1], 0x37b0
	v_lshl_add_u64 v[0:1], v[128:129], 0, s[0:1]
	global_load_dwordx4 v[130:133], v[0:1], off offset:1584
	global_load_dwordx4 v[134:137], v[0:1], off offset:3168
	s_movk_i32 s0, 0x4000
	v_add_co_u32_e64 v0, s[0:1], s0, v128
	s_mov_b32 s8, 0xe8584cab
	s_nop 0
	v_addc_co_u32_e64 v1, s[0:1], 0, v129, s[0:1]
	global_load_dwordx4 v[138:141], v[0:1], off offset:2624
	s_movk_i32 s0, 0x5000
	v_add_co_u32_e64 v0, s[0:1], s0, v128
	s_mov_b32 s12, s8
	s_nop 0
	v_addc_co_u32_e64 v1, s[0:1], 0, v129, s[0:1]
	global_load_dwordx4 v[142:145], v[0:1], off offset:112
	global_load_dwordx4 v[146:149], v[0:1], off offset:1696
	;; [unrolled: 1-line block ×3, first 2 shown]
	s_movk_i32 s0, 0x6000
	v_add_co_u32_e64 v0, s[0:1], s0, v128
	s_nop 1
	v_addc_co_u32_e64 v1, s[0:1], 0, v129, s[0:1]
	global_load_dwordx4 v[154:157], v[0:1], off offset:768
	global_load_dwordx4 v[164:167], v[0:1], off offset:2352
	ds_read_b128 v[168:171], v163
	ds_read_b128 v[172:175], v163 offset:1584
	s_mov_b32 s1, 0x3fe491b7
	s_mov_b32 s0, 0x523c161c
	s_waitcnt vmcnt(8) lgkmcnt(1)
	v_mul_f64 v[0:1], v[170:171], v[126:127]
	v_mul_f64 v[178:179], v[168:169], v[126:127]
	v_fma_f64 v[176:177], v[168:169], v[124:125], -v[0:1]
	v_fmac_f64_e32 v[178:179], v[170:171], v[124:125]
	ds_read_b128 v[168:171], v163 offset:3168
	s_waitcnt vmcnt(7) lgkmcnt(1)
	v_mul_f64 v[0:1], v[174:175], v[132:133]
	v_mul_f64 v[126:127], v[172:173], v[132:133]
	v_fma_f64 v[124:125], v[172:173], v[130:131], -v[0:1]
	v_fmac_f64_e32 v[126:127], v[174:175], v[130:131]
	ds_write_b128 v163, v[124:127] offset:1584
	ds_read_b128 v[124:127], v163 offset:4752
	s_waitcnt vmcnt(6) lgkmcnt(2)
	v_mul_f64 v[0:1], v[170:171], v[136:137]
	v_mul_f64 v[130:131], v[168:169], v[136:137]
	v_fma_f64 v[128:129], v[168:169], v[134:135], -v[0:1]
	v_fmac_f64_e32 v[130:131], v[170:171], v[134:135]
	ds_read_b128 v[132:135], v163 offset:6336
	ds_write_b128 v163, v[128:131] offset:3168
	s_waitcnt vmcnt(5) lgkmcnt(2)
	v_mul_f64 v[0:1], v[126:127], v[140:141]
	v_mul_f64 v[130:131], v[124:125], v[140:141]
	v_fma_f64 v[128:129], v[124:125], v[138:139], -v[0:1]
	v_fmac_f64_e32 v[130:131], v[126:127], v[138:139]
	ds_read_b128 v[124:127], v163 offset:7920
	ds_write_b128 v163, v[128:131] offset:4752
	;; [unrolled: 7-line block ×4, first 2 shown]
	s_waitcnt vmcnt(2) lgkmcnt(3)
	v_mul_f64 v[0:1], v[134:135], v[152:153]
	v_mul_f64 v[130:131], v[132:133], v[152:153]
	v_fma_f64 v[128:129], v[132:133], v[150:151], -v[0:1]
	v_fmac_f64_e32 v[130:131], v[134:135], v[150:151]
	ds_write_b128 v163, v[128:131] offset:9504
	ds_read_b128 v[128:131], v163 offset:12672
	s_waitcnt vmcnt(1) lgkmcnt(3)
	v_mul_f64 v[0:1], v[126:127], v[156:157]
	v_mul_f64 v[134:135], v[124:125], v[156:157]
	v_fma_f64 v[132:133], v[124:125], v[154:155], -v[0:1]
	v_fmac_f64_e32 v[134:135], v[126:127], v[154:155]
	s_waitcnt vmcnt(0) lgkmcnt(0)
	v_mul_f64 v[0:1], v[130:131], v[166:167]
	v_mul_f64 v[126:127], v[128:129], v[166:167]
	v_fma_f64 v[124:125], v[128:129], v[164:165], -v[0:1]
	v_fmac_f64_e32 v[126:127], v[130:131], v[164:165]
	ds_write_b128 v163, v[176:179]
	ds_write_b128 v163, v[132:135] offset:11088
	ds_write_b128 v163, v[124:127] offset:12672
	s_waitcnt lgkmcnt(0)
	s_barrier
	ds_read_b128 v[148:151], v163
	ds_read_b128 v[124:127], v163 offset:1584
	ds_read_b128 v[128:131], v163 offset:3168
	;; [unrolled: 1-line block ×8, first 2 shown]
	s_waitcnt lgkmcnt(4)
	v_add_f64 v[0:1], v[124:125], v[136:137]
	v_add_f64 v[2:3], v[126:127], v[138:139]
	v_add_f64 v[12:13], v[124:125], -v[136:137]
	v_add_f64 v[14:15], v[126:127], -v[138:139]
	s_waitcnt lgkmcnt(2)
	v_add_f64 v[4:5], v[128:129], v[144:145]
	v_add_f64 v[6:7], v[130:131], v[146:147]
	v_add_f64 v[16:17], v[128:129], -v[144:145]
	v_add_f64 v[18:19], v[130:131], -v[146:147]
	v_mul_f64 v[124:125], v[12:13], s[0:1]
	v_mul_f64 v[126:127], v[14:15], s[0:1]
	v_fma_f64 v[128:129], s[14:15], v[0:1], v[148:149]
	v_fma_f64 v[130:131], s[14:15], v[2:3], v[150:151]
	v_add_f64 v[8:9], v[132:133], v[140:141]
	v_add_f64 v[10:11], v[134:135], v[142:143]
	v_add_f64 v[20:21], v[132:133], -v[140:141]
	v_add_f64 v[22:23], v[134:135], -v[142:143]
	v_fmac_f64_e32 v[124:125], s[10:11], v[16:17]
	v_fmac_f64_e32 v[126:127], s[10:11], v[18:19]
	;; [unrolled: 1-line block ×6, first 2 shown]
	s_waitcnt lgkmcnt(0)
	v_add_f64 v[168:169], v[156:157], -v[164:165]
	v_add_f64 v[170:171], v[158:159], -v[166:167]
	v_fmac_f64_e32 v[128:129], -0.5, v[8:9]
	v_fmac_f64_e32 v[130:131], -0.5, v[10:11]
	v_add_f64 v[172:173], v[156:157], v[164:165]
	v_add_f64 v[174:175], v[158:159], v[166:167]
	v_fmac_f64_e32 v[124:125], s[18:19], v[168:169]
	v_fmac_f64_e32 v[126:127], s[18:19], v[170:171]
	;; [unrolled: 1-line block ×4, first 2 shown]
	v_add_f64 v[128:129], v[128:129], -v[126:127]
	v_add_f64 v[130:131], v[124:125], v[130:131]
	s_mov_b32 s1, 0xbfe491b7
	v_fma_f64 v[136:137], 2.0, v[126:127], v[128:129]
	v_fma_f64 v[138:139], -2.0, v[124:125], v[130:131]
	v_mul_f64 v[124:125], v[168:169], s[0:1]
	v_mul_f64 v[126:127], v[170:171], s[0:1]
	v_fma_f64 v[132:133], s[14:15], v[172:173], v[148:149]
	v_fma_f64 v[134:135], s[14:15], v[174:175], v[150:151]
	v_fmac_f64_e32 v[124:125], s[10:11], v[12:13]
	v_fmac_f64_e32 v[126:127], s[10:11], v[14:15]
	;; [unrolled: 1-line block ×6, first 2 shown]
	v_fmac_f64_e32 v[132:133], -0.5, v[8:9]
	v_fmac_f64_e32 v[134:135], -0.5, v[10:11]
	v_fmac_f64_e32 v[124:125], s[18:19], v[16:17]
	v_fmac_f64_e32 v[126:127], s[18:19], v[18:19]
	v_fmac_f64_e32 v[132:133], s[20:21], v[4:5]
	v_fmac_f64_e32 v[134:135], s[20:21], v[6:7]
	v_add_f64 v[132:133], v[132:133], -v[126:127]
	v_add_f64 v[134:135], v[124:125], v[134:135]
	v_add_f64 v[176:177], v[4:5], v[0:1]
	;; [unrolled: 1-line block ×3, first 2 shown]
	v_fma_f64 v[144:145], 2.0, v[126:127], v[132:133]
	v_fma_f64 v[146:147], -2.0, v[124:125], v[134:135]
	v_add_f64 v[124:125], v[168:169], v[12:13]
	v_add_f64 v[126:127], v[170:171], v[14:15]
	;; [unrolled: 1-line block ×6, first 2 shown]
	v_add_f64 v[124:125], v[124:125], -v[16:17]
	v_add_f64 v[126:127], v[126:127], -v[18:19]
	v_fmac_f64_e32 v[140:141], -0.5, v[182:183]
	v_fmac_f64_e32 v[142:143], -0.5, v[184:185]
	v_mul_f64 v[154:155], v[124:125], s[8:9]
	v_mul_f64 v[152:153], v[126:127], s[8:9]
	v_fmac_f64_e32 v[140:141], s[12:13], v[126:127]
	v_fmac_f64_e32 v[142:143], s[8:9], v[124:125]
	v_mul_f64 v[124:125], v[168:169], s[10:11]
	v_mul_f64 v[126:127], v[170:171], s[10:11]
	v_fma_f64 v[16:17], v[16:17], s[0:1], -v[124:125]
	v_fma_f64 v[18:19], v[18:19], s[0:1], -v[126:127]
	v_fmac_f64_e32 v[16:17], s[8:9], v[20:21]
	v_fmac_f64_e32 v[18:19], s[8:9], v[22:23]
	;; [unrolled: 1-line block ×4, first 2 shown]
	v_add_f64 v[12:13], v[8:9], v[176:177]
	v_add_f64 v[14:15], v[10:11], v[178:179]
	;; [unrolled: 1-line block ×8, first 2 shown]
	v_fmac_f64_e32 v[148:149], s[14:15], v[4:5]
	v_fmac_f64_e32 v[150:151], s[14:15], v[6:7]
	;; [unrolled: 1-line block ×4, first 2 shown]
	v_fmac_f64_e32 v[148:149], -0.5, v[8:9]
	v_fmac_f64_e32 v[150:151], -0.5, v[10:11]
	v_fmac_f64_e32 v[148:149], s[20:21], v[0:1]
	v_fmac_f64_e32 v[150:151], s[20:21], v[2:3]
	v_add_f64 v[148:149], v[148:149], -v[18:19]
	v_add_f64 v[150:151], v[16:17], v[150:151]
	v_fma_f64 v[152:153], 2.0, v[152:153], v[140:141]
	v_fma_f64 v[154:155], -2.0, v[154:155], v[142:143]
	v_fma_f64 v[156:157], 2.0, v[18:19], v[148:149]
	v_fma_f64 v[158:159], -2.0, v[16:17], v[150:151]
	s_barrier
	ds_write_b128 v221, v[124:127]
	ds_write_b128 v221, v[128:131] offset:16
	ds_write_b128 v221, v[132:135] offset:32
	;; [unrolled: 1-line block ×8, first 2 shown]
	s_waitcnt lgkmcnt(0)
	s_barrier
	s_and_saveexec_b64 s[0:1], vcc
	s_cbranch_execz .LBB0_7
; %bb.6:
	ds_read_b128 v[124:127], v163
	ds_read_b128 v[128:131], v163 offset:1296
	ds_read_b128 v[132:135], v163 offset:2592
	;; [unrolled: 1-line block ×10, first 2 shown]
.LBB0_7:
	s_or_b64 exec, exec, s[0:1]
	v_add_u32_e32 v181, 0xc60, v163
	s_waitcnt lgkmcnt(0)
	s_barrier
	s_and_saveexec_b64 s[0:1], vcc
	s_cbranch_execz .LBB0_9
; %bb.8:
	v_mul_f64 v[164:165], v[74:75], v[158:159]
	v_mul_f64 v[2:3], v[74:75], v[156:157]
	v_fmac_f64_e32 v[164:165], v[72:73], v[156:157]
	v_mul_f64 v[166:167], v[70:71], v[154:155]
	v_fma_f64 v[72:73], v[72:73], v[158:159], -v[2:3]
	v_mul_f64 v[2:3], v[70:71], v[152:153]
	v_fmac_f64_e32 v[166:167], v[68:69], v[152:153]
	v_fma_f64 v[74:75], v[68:69], v[154:155], -v[2:3]
	v_mul_f64 v[68:69], v[50:51], v[150:151]
	v_mul_f64 v[6:7], v[50:51], v[148:149]
	v_fmac_f64_e32 v[68:69], v[48:49], v[148:149]
	v_mul_f64 v[70:71], v[66:67], v[146:147]
	v_fma_f64 v[148:149], v[48:49], v[150:151], -v[6:7]
	v_mul_f64 v[6:7], v[66:67], v[144:145]
	v_fmac_f64_e32 v[70:71], v[64:65], v[144:145]
	v_fma_f64 v[66:67], v[64:65], v[146:147], -v[6:7]
	v_mul_f64 v[144:145], v[46:47], v[142:143]
	v_mul_f64 v[64:65], v[58:59], v[138:139]
	;; [unrolled: 1-line block ×3, first 2 shown]
	v_fmac_f64_e32 v[144:145], v[44:45], v[140:141]
	v_fmac_f64_e32 v[64:65], v[56:57], v[136:137]
	v_fma_f64 v[140:141], v[44:45], v[142:143], -v[10:11]
	v_mul_f64 v[10:11], v[58:59], v[136:137]
	v_mul_f64 v[136:137], v[42:43], v[134:135]
	;; [unrolled: 1-line block ×3, first 2 shown]
	v_fma_f64 v[58:59], v[56:57], v[138:139], -v[10:11]
	v_fmac_f64_e32 v[136:137], v[40:41], v[132:133]
	v_mul_f64 v[56:57], v[62:63], v[122:123]
	v_fma_f64 v[132:133], v[40:41], v[134:135], -v[14:15]
	v_mul_f64 v[14:15], v[62:63], v[120:121]
	v_fmac_f64_e32 v[56:57], v[60:61], v[120:121]
	v_fma_f64 v[62:63], v[60:61], v[122:123], -v[14:15]
	v_mul_f64 v[120:121], v[38:39], v[130:131]
	v_mul_f64 v[60:61], v[54:55], v[102:103]
	;; [unrolled: 1-line block ×3, first 2 shown]
	v_fmac_f64_e32 v[120:121], v[36:37], v[128:129]
	v_fmac_f64_e32 v[60:61], v[52:53], v[100:101]
	s_mov_b32 s24, 0xfd768dbf
	v_fma_f64 v[122:123], v[36:37], v[130:131], -v[18:19]
	v_mul_f64 v[18:19], v[54:55], v[100:101]
	s_mov_b32 s26, 0xf8bb580b
	v_add_f64 v[158:159], v[120:121], -v[60:61]
	s_mov_b32 s25, 0xbfd207e7
	v_fma_f64 v[52:53], v[52:53], v[102:103], -v[18:19]
	s_mov_b32 s22, 0x9bcd5057
	s_mov_b32 s20, 0xbb3a28a1
	v_add_f64 v[142:143], v[136:137], -v[56:57]
	s_mov_b32 s27, 0x3fe14ced
	s_mov_b32 s18, 0x8764f0ba
	v_mul_f64 v[16:17], v[158:159], s[24:25]
	v_add_f64 v[54:55], v[122:123], v[52:53]
	s_mov_b32 s23, 0xbfeeb42a
	v_add_f64 v[150:151], v[144:145], -v[64:65]
	s_mov_b32 s21, 0xbfe82f19
	s_mov_b32 s16, 0x7f775887
	v_mul_f64 v[12:13], v[142:143], s[26:27]
	v_add_f64 v[134:135], v[132:133], v[62:63]
	s_mov_b32 s19, 0x3feaeb8c
	v_fma_f64 v[18:19], s[22:23], v[54:55], v[16:17]
	v_add_f64 v[178:179], v[122:123], -v[52:53]
	s_mov_b32 s10, 0x43842ef
	v_add_f64 v[154:155], v[68:69], -v[70:71]
	s_mov_b32 s15, 0x3fed1bb4
	s_mov_b32 s14, 0x8eee2c13
	;; [unrolled: 1-line block ×3, first 2 shown]
	v_mul_f64 v[8:9], v[150:151], s[20:21]
	v_add_f64 v[138:139], v[140:141], v[58:59]
	s_mov_b32 s17, 0xbfe4f49e
	v_fma_f64 v[14:15], s[18:19], v[134:135], v[12:13]
	v_add_f64 v[18:19], v[126:127], v[18:19]
	v_add_f64 v[176:177], v[132:133], -v[62:63]
	v_add_f64 v[156:157], v[120:121], v[60:61]
	v_mul_f64 v[40:41], v[178:179], s[24:25]
	v_add_f64 v[168:169], v[164:165], -v[166:167]
	s_mov_b32 s11, 0xbfefac9e
	s_mov_b32 s8, 0x640f44db
	v_mul_f64 v[4:5], v[154:155], s[14:15]
	v_add_f64 v[146:147], v[148:149], v[66:67]
	s_mov_b32 s13, 0x3fda9628
	v_fma_f64 v[10:11], s[16:17], v[138:139], v[8:9]
	v_add_f64 v[14:15], v[14:15], v[18:19]
	v_add_f64 v[174:175], v[140:141], -v[58:59]
	v_add_f64 v[130:131], v[136:137], v[56:57]
	v_mul_f64 v[22:23], v[176:177], s[26:27]
	v_fma_f64 v[42:43], v[156:157], s[22:23], -v[40:41]
	v_mul_f64 v[0:1], v[168:169], s[10:11]
	v_add_f64 v[152:153], v[72:73], v[74:75]
	s_mov_b32 s9, 0xbfc2375f
	v_fma_f64 v[6:7], s[12:13], v[146:147], v[4:5]
	v_add_f64 v[10:11], v[10:11], v[14:15]
	v_add_f64 v[172:173], v[148:149], -v[66:67]
	v_add_f64 v[128:129], v[144:145], v[64:65]
	v_mul_f64 v[18:19], v[174:175], s[20:21]
	v_fma_f64 v[36:37], v[130:131], s[18:19], -v[22:23]
	v_add_f64 v[42:43], v[124:125], v[42:43]
	v_fma_f64 v[2:3], s[8:9], v[152:153], v[0:1]
	v_add_f64 v[6:7], v[6:7], v[10:11]
	v_add_f64 v[170:171], v[72:73], -v[74:75]
	v_add_f64 v[102:103], v[68:69], v[70:71]
	v_mul_f64 v[10:11], v[172:173], s[14:15]
	v_fma_f64 v[20:21], v[128:129], s[16:17], -v[18:19]
	v_add_f64 v[36:37], v[36:37], v[42:43]
	v_add_f64 v[38:39], v[2:3], v[6:7]
	;; [unrolled: 1-line block ×3, first 2 shown]
	v_mul_f64 v[2:3], v[170:171], s[10:11]
	v_fma_f64 v[14:15], v[102:103], s[12:13], -v[10:11]
	v_add_f64 v[20:21], v[20:21], v[36:37]
	v_fma_f64 v[6:7], v[100:101], s[8:9], -v[2:3]
	v_add_f64 v[14:15], v[14:15], v[20:21]
	v_add_f64 v[36:37], v[6:7], v[14:15]
	v_fma_f64 v[6:7], v[138:139], s[16:17], -v[8:9]
	v_fma_f64 v[8:9], v[134:135], s[18:19], -v[12:13]
	;; [unrolled: 1-line block ×3, first 2 shown]
	v_add_f64 v[12:13], v[126:127], v[12:13]
	v_add_f64 v[8:9], v[8:9], v[12:13]
	v_fma_f64 v[4:5], v[146:147], s[12:13], -v[4:5]
	v_add_f64 v[6:7], v[6:7], v[8:9]
	v_fma_f64 v[0:1], v[152:153], s[8:9], -v[0:1]
	v_add_f64 v[4:5], v[4:5], v[6:7]
	v_fmac_f64_e32 v[40:41], s[22:23], v[156:157]
	v_add_f64 v[42:43], v[0:1], v[4:5]
	v_fmac_f64_e32 v[22:23], s[18:19], v[130:131]
	;; [unrolled: 2-line block ×3, first 2 shown]
	v_add_f64 v[0:1], v[22:23], v[0:1]
	s_mov_b32 s31, 0x3fefac9e
	s_mov_b32 s30, s10
	v_mul_f64 v[16:17], v[158:159], s[20:21]
	v_add_f64 v[0:1], v[18:19], v[0:1]
	s_mov_b32 s29, 0xbfe14ced
	s_mov_b32 s28, s26
	v_mul_f64 v[12:13], v[142:143], s[30:31]
	v_fma_f64 v[18:19], s[16:17], v[54:55], v[16:17]
	v_fmac_f64_e32 v[10:11], s[12:13], v[102:103]
	v_mul_f64 v[8:9], v[150:151], s[28:29]
	v_fma_f64 v[14:15], s[8:9], v[134:135], v[12:13]
	v_add_f64 v[18:19], v[126:127], v[18:19]
	v_mul_f64 v[48:49], v[178:179], s[20:21]
	v_fmac_f64_e32 v[2:3], s[8:9], v[100:101]
	v_add_f64 v[0:1], v[10:11], v[0:1]
	v_mul_f64 v[4:5], v[154:155], s[24:25]
	v_fma_f64 v[10:11], s[18:19], v[138:139], v[8:9]
	v_add_f64 v[14:15], v[14:15], v[18:19]
	v_mul_f64 v[22:23], v[176:177], s[30:31]
	v_fma_f64 v[50:51], v[156:157], s[16:17], -v[48:49]
	v_add_f64 v[40:41], v[2:3], v[0:1]
	v_mul_f64 v[0:1], v[168:169], s[14:15]
	v_fma_f64 v[6:7], s[22:23], v[146:147], v[4:5]
	v_add_f64 v[10:11], v[10:11], v[14:15]
	v_mul_f64 v[18:19], v[174:175], s[28:29]
	v_fma_f64 v[44:45], v[130:131], s[8:9], -v[22:23]
	v_add_f64 v[50:51], v[124:125], v[50:51]
	v_fma_f64 v[2:3], s[12:13], v[152:153], v[0:1]
	v_add_f64 v[6:7], v[6:7], v[10:11]
	v_mul_f64 v[10:11], v[172:173], s[24:25]
	v_fma_f64 v[20:21], v[128:129], s[18:19], -v[18:19]
	v_add_f64 v[44:45], v[44:45], v[50:51]
	v_add_f64 v[46:47], v[2:3], v[6:7]
	v_mul_f64 v[2:3], v[170:171], s[14:15]
	v_fma_f64 v[14:15], v[102:103], s[22:23], -v[10:11]
	v_add_f64 v[20:21], v[20:21], v[44:45]
	v_fma_f64 v[6:7], v[100:101], s[12:13], -v[2:3]
	v_add_f64 v[14:15], v[14:15], v[20:21]
	v_add_f64 v[44:45], v[6:7], v[14:15]
	v_fma_f64 v[6:7], v[138:139], s[18:19], -v[8:9]
	v_fma_f64 v[8:9], v[134:135], s[8:9], -v[12:13]
	;; [unrolled: 1-line block ×3, first 2 shown]
	v_add_f64 v[12:13], v[126:127], v[12:13]
	v_add_f64 v[8:9], v[8:9], v[12:13]
	v_fma_f64 v[4:5], v[146:147], s[22:23], -v[4:5]
	v_add_f64 v[6:7], v[6:7], v[8:9]
	v_fma_f64 v[0:1], v[152:153], s[12:13], -v[0:1]
	v_add_f64 v[4:5], v[4:5], v[6:7]
	v_fmac_f64_e32 v[48:49], s[16:17], v[156:157]
	v_add_f64 v[50:51], v[0:1], v[4:5]
	v_fmac_f64_e32 v[22:23], s[8:9], v[130:131]
	;; [unrolled: 2-line block ×3, first 2 shown]
	v_add_f64 v[0:1], v[22:23], v[0:1]
	s_mov_b32 s35, 0x3fd207e7
	s_mov_b32 s34, s24
	v_mul_f64 v[16:17], v[158:159], s[10:11]
	v_add_f64 v[0:1], v[18:19], v[0:1]
	v_mul_f64 v[12:13], v[142:143], s[34:35]
	v_fma_f64 v[18:19], s[8:9], v[54:55], v[16:17]
	v_fmac_f64_e32 v[10:11], s[22:23], v[102:103]
	v_mul_f64 v[8:9], v[150:151], s[14:15]
	v_fma_f64 v[14:15], s[22:23], v[134:135], v[12:13]
	v_add_f64 v[18:19], v[126:127], v[18:19]
	v_mul_f64 v[186:187], v[178:179], s[10:11]
	v_fmac_f64_e32 v[2:3], s[12:13], v[100:101]
	v_add_f64 v[0:1], v[10:11], v[0:1]
	v_mul_f64 v[4:5], v[154:155], s[28:29]
	v_fma_f64 v[10:11], s[12:13], v[138:139], v[8:9]
	v_add_f64 v[14:15], v[14:15], v[18:19]
	v_mul_f64 v[22:23], v[176:177], s[34:35]
	v_fma_f64 v[188:189], v[156:157], s[8:9], -v[186:187]
	v_add_f64 v[48:49], v[2:3], v[0:1]
	v_mul_f64 v[0:1], v[168:169], s[20:21]
	v_fma_f64 v[6:7], s[18:19], v[146:147], v[4:5]
	v_add_f64 v[10:11], v[10:11], v[14:15]
	v_mul_f64 v[18:19], v[174:175], s[14:15]
	v_fma_f64 v[182:183], v[130:131], s[22:23], -v[22:23]
	v_add_f64 v[188:189], v[124:125], v[188:189]
	v_fma_f64 v[2:3], s[16:17], v[152:153], v[0:1]
	v_add_f64 v[6:7], v[6:7], v[10:11]
	v_mul_f64 v[10:11], v[172:173], s[28:29]
	v_fma_f64 v[20:21], v[128:129], s[12:13], -v[18:19]
	v_add_f64 v[182:183], v[182:183], v[188:189]
	v_add_f64 v[184:185], v[2:3], v[6:7]
	v_mul_f64 v[2:3], v[170:171], s[20:21]
	v_fma_f64 v[14:15], v[102:103], s[18:19], -v[10:11]
	v_add_f64 v[20:21], v[20:21], v[182:183]
	v_fma_f64 v[6:7], v[100:101], s[16:17], -v[2:3]
	v_add_f64 v[14:15], v[14:15], v[20:21]
	v_add_f64 v[182:183], v[6:7], v[14:15]
	v_fma_f64 v[6:7], v[138:139], s[12:13], -v[8:9]
	v_fma_f64 v[8:9], v[134:135], s[22:23], -v[12:13]
	;; [unrolled: 1-line block ×3, first 2 shown]
	v_add_f64 v[12:13], v[126:127], v[12:13]
	v_add_f64 v[8:9], v[8:9], v[12:13]
	v_fma_f64 v[4:5], v[146:147], s[18:19], -v[4:5]
	v_add_f64 v[6:7], v[6:7], v[8:9]
	v_fma_f64 v[0:1], v[152:153], s[16:17], -v[0:1]
	v_add_f64 v[4:5], v[4:5], v[6:7]
	v_fmac_f64_e32 v[186:187], s[8:9], v[156:157]
	v_add_f64 v[188:189], v[0:1], v[4:5]
	v_fmac_f64_e32 v[22:23], s[22:23], v[130:131]
	v_add_f64 v[0:1], v[124:125], v[186:187]
	s_mov_b32 s15, 0xbfed1bb4
	v_fmac_f64_e32 v[18:19], s[12:13], v[128:129]
	v_add_f64 v[0:1], v[22:23], v[0:1]
	v_mul_f64 v[16:17], v[158:159], s[14:15]
	v_add_f64 v[0:1], v[18:19], v[0:1]
	v_mul_f64 v[12:13], v[142:143], s[20:21]
	v_fma_f64 v[18:19], s[12:13], v[54:55], v[16:17]
	v_fmac_f64_e32 v[10:11], s[18:19], v[102:103]
	v_mul_f64 v[8:9], v[150:151], s[34:35]
	v_fma_f64 v[14:15], s[16:17], v[134:135], v[12:13]
	v_add_f64 v[18:19], v[126:127], v[18:19]
	v_mul_f64 v[194:195], v[178:179], s[14:15]
	v_fmac_f64_e32 v[2:3], s[16:17], v[100:101]
	v_add_f64 v[0:1], v[10:11], v[0:1]
	v_mul_f64 v[4:5], v[154:155], s[30:31]
	v_fma_f64 v[10:11], s[22:23], v[138:139], v[8:9]
	v_add_f64 v[14:15], v[14:15], v[18:19]
	v_mul_f64 v[22:23], v[176:177], s[20:21]
	v_fma_f64 v[196:197], v[156:157], s[12:13], -v[194:195]
	v_add_f64 v[186:187], v[2:3], v[0:1]
	v_mul_f64 v[0:1], v[168:169], s[26:27]
	v_fma_f64 v[6:7], s[8:9], v[146:147], v[4:5]
	v_add_f64 v[10:11], v[10:11], v[14:15]
	v_mul_f64 v[18:19], v[174:175], s[34:35]
	v_fma_f64 v[190:191], v[130:131], s[16:17], -v[22:23]
	v_add_f64 v[196:197], v[124:125], v[196:197]
	v_fma_f64 v[2:3], s[18:19], v[152:153], v[0:1]
	v_add_f64 v[6:7], v[6:7], v[10:11]
	v_mul_f64 v[10:11], v[172:173], s[30:31]
	v_fma_f64 v[20:21], v[128:129], s[22:23], -v[18:19]
	v_add_f64 v[190:191], v[190:191], v[196:197]
	v_add_f64 v[192:193], v[2:3], v[6:7]
	v_mul_f64 v[2:3], v[170:171], s[26:27]
	v_fma_f64 v[14:15], v[102:103], s[8:9], -v[10:11]
	v_add_f64 v[20:21], v[20:21], v[190:191]
	v_fma_f64 v[6:7], v[100:101], s[18:19], -v[2:3]
	v_add_f64 v[14:15], v[14:15], v[20:21]
	v_add_f64 v[190:191], v[6:7], v[14:15]
	v_fma_f64 v[6:7], v[138:139], s[22:23], -v[8:9]
	v_fma_f64 v[8:9], v[134:135], s[16:17], -v[12:13]
	;; [unrolled: 1-line block ×3, first 2 shown]
	v_add_f64 v[12:13], v[126:127], v[12:13]
	v_add_f64 v[8:9], v[8:9], v[12:13]
	v_fma_f64 v[4:5], v[146:147], s[8:9], -v[4:5]
	v_add_f64 v[6:7], v[6:7], v[8:9]
	v_fma_f64 v[0:1], v[152:153], s[18:19], -v[0:1]
	v_add_f64 v[4:5], v[4:5], v[6:7]
	v_fmac_f64_e32 v[194:195], s[12:13], v[156:157]
	v_add_f64 v[196:197], v[0:1], v[4:5]
	v_fmac_f64_e32 v[22:23], s[16:17], v[130:131]
	;; [unrolled: 2-line block ×3, first 2 shown]
	v_add_f64 v[0:1], v[22:23], v[0:1]
	v_mul_f64 v[16:17], v[158:159], s[28:29]
	v_add_f64 v[0:1], v[18:19], v[0:1]
	v_mul_f64 v[12:13], v[142:143], s[14:15]
	v_fma_f64 v[18:19], s[18:19], v[54:55], v[16:17]
	v_fmac_f64_e32 v[10:11], s[8:9], v[102:103]
	v_mul_f64 v[8:9], v[150:151], s[10:11]
	v_fma_f64 v[14:15], s[12:13], v[134:135], v[12:13]
	v_add_f64 v[18:19], v[126:127], v[18:19]
	v_mul_f64 v[150:151], v[178:179], s[28:29]
	v_fmac_f64_e32 v[2:3], s[18:19], v[100:101]
	v_add_f64 v[0:1], v[10:11], v[0:1]
	v_mul_f64 v[4:5], v[154:155], s[20:21]
	v_fma_f64 v[10:11], s[8:9], v[138:139], v[8:9]
	v_add_f64 v[14:15], v[14:15], v[18:19]
	v_mul_f64 v[22:23], v[176:177], s[14:15]
	v_fma_f64 v[154:155], v[156:157], s[18:19], -v[150:151]
	v_add_f64 v[194:195], v[2:3], v[0:1]
	v_mul_f64 v[0:1], v[168:169], s[24:25]
	v_fma_f64 v[6:7], s[16:17], v[146:147], v[4:5]
	v_add_f64 v[10:11], v[10:11], v[14:15]
	v_mul_f64 v[18:19], v[174:175], s[10:11]
	v_fma_f64 v[142:143], v[130:131], s[12:13], -v[22:23]
	v_add_f64 v[154:155], v[124:125], v[154:155]
	v_fma_f64 v[2:3], s[22:23], v[152:153], v[0:1]
	v_add_f64 v[6:7], v[6:7], v[10:11]
	v_mul_f64 v[10:11], v[172:173], s[20:21]
	v_fma_f64 v[20:21], v[128:129], s[8:9], -v[18:19]
	v_add_f64 v[142:143], v[142:143], v[154:155]
	v_add_f64 v[200:201], v[2:3], v[6:7]
	v_mul_f64 v[2:3], v[170:171], s[24:25]
	v_fma_f64 v[14:15], v[102:103], s[16:17], -v[10:11]
	v_add_f64 v[20:21], v[20:21], v[142:143]
	v_fma_f64 v[6:7], v[100:101], s[22:23], -v[2:3]
	v_add_f64 v[14:15], v[14:15], v[20:21]
	v_add_f64 v[198:199], v[6:7], v[14:15]
	v_fma_f64 v[6:7], v[138:139], s[8:9], -v[8:9]
	v_fma_f64 v[8:9], v[134:135], s[12:13], -v[12:13]
	;; [unrolled: 1-line block ×3, first 2 shown]
	v_add_f64 v[12:13], v[126:127], v[12:13]
	v_add_f64 v[8:9], v[8:9], v[12:13]
	v_fma_f64 v[4:5], v[146:147], s[16:17], -v[4:5]
	v_add_f64 v[6:7], v[6:7], v[8:9]
	v_fma_f64 v[0:1], v[152:153], s[22:23], -v[0:1]
	v_add_f64 v[4:5], v[4:5], v[6:7]
	v_fmac_f64_e32 v[150:151], s[18:19], v[156:157]
	v_add_f64 v[152:153], v[0:1], v[4:5]
	v_fmac_f64_e32 v[22:23], s[12:13], v[130:131]
	;; [unrolled: 2-line block ×5, first 2 shown]
	v_add_f64 v[0:1], v[10:11], v[0:1]
	v_add_f64 v[150:151], v[2:3], v[0:1]
	;; [unrolled: 1-line block ×22, first 2 shown]
	v_mul_u32_u24_e32 v0, 0x63, v218
	v_add_u32_sdwa v0, v0, v219 dst_sel:DWORD dst_unused:UNUSED_PAD src0_sel:DWORD src1_sel:BYTE_0
	v_lshl_add_u32 v0, v0, 4, v220
	ds_write_b128 v0, v[52:55]
	ds_write_b128 v0, v[150:153] offset:144
	ds_write_b128 v0, v[194:197] offset:288
	;; [unrolled: 1-line block ×10, first 2 shown]
.LBB0_9:
	s_or_b64 exec, exec, s[0:1]
	s_waitcnt lgkmcnt(0)
	s_barrier
	ds_read_b128 v[42:45], v163
	ds_read_b128 v[46:49], v163 offset:1584
	ds_read_b128 v[50:53], v163 offset:9504
	;; [unrolled: 1-line block ×8, first 2 shown]
	s_waitcnt lgkmcnt(4)
	v_mul_f64 v[0:1], v[82:83], v[60:61]
	v_mul_f64 v[4:5], v[78:79], v[52:53]
	v_mad_u64_u32 v[38:39], s[0:1], s6, v162, 0
	v_fmac_f64_e32 v[0:1], v[80:81], v[58:59]
	v_mul_f64 v[2:3], v[82:83], v[58:59]
	v_fmac_f64_e32 v[4:5], v[76:77], v[50:51]
	v_mul_f64 v[6:7], v[78:79], v[50:51]
	v_fma_f64 v[2:3], v[80:81], v[60:61], -v[2:3]
	v_fma_f64 v[6:7], v[76:77], v[52:53], -v[6:7]
	v_add_f64 v[52:53], v[0:1], v[4:5]
	s_mov_b32 s0, 0xe8584caa
	v_mov_b32_e32 v36, s2
	v_mov_b32_e32 v37, s3
	v_mul_f64 v[12:13], v[78:79], v[56:57]
	v_add_f64 v[50:51], v[42:43], v[0:1]
	v_fmac_f64_e32 v[42:43], -0.5, v[52:53]
	v_add_f64 v[52:53], v[2:3], -v[6:7]
	s_mov_b32 s1, 0xbfebb67a
	s_mov_b32 s3, 0x3febb67a
	;; [unrolled: 1-line block ×3, first 2 shown]
	s_waitcnt lgkmcnt(2)
	v_mul_f64 v[8:9], v[82:83], v[68:69]
	v_fmac_f64_e32 v[12:13], v[76:77], v[54:55]
	v_mul_f64 v[14:15], v[78:79], v[54:55]
	v_fma_f64 v[54:55], s[0:1], v[52:53], v[42:43]
	v_fmac_f64_e32 v[42:43], s[2:3], v[52:53]
	v_add_f64 v[52:53], v[44:45], v[2:3]
	v_add_f64 v[2:3], v[2:3], v[6:7]
	v_fmac_f64_e32 v[8:9], v[80:81], v[66:67]
	v_fmac_f64_e32 v[44:45], -0.5, v[2:3]
	v_add_f64 v[0:1], v[0:1], -v[4:5]
	v_mul_f64 v[10:11], v[82:83], v[66:67]
	v_fma_f64 v[14:15], v[76:77], v[56:57], -v[14:15]
	v_fma_f64 v[56:57], s[2:3], v[0:1], v[44:45]
	v_fmac_f64_e32 v[44:45], s[0:1], v[0:1]
	v_add_f64 v[0:1], v[46:47], v[8:9]
	v_fma_f64 v[10:11], v[80:81], v[68:69], -v[10:11]
	v_add_f64 v[58:59], v[0:1], v[12:13]
	v_add_f64 v[0:1], v[8:9], v[12:13]
	v_fmac_f64_e32 v[46:47], -0.5, v[0:1]
	v_add_f64 v[0:1], v[10:11], -v[14:15]
	v_fma_f64 v[66:67], s[0:1], v[0:1], v[46:47]
	v_fmac_f64_e32 v[46:47], s[2:3], v[0:1]
	v_add_f64 v[0:1], v[48:49], v[10:11]
	s_waitcnt lgkmcnt(1)
	v_mul_f64 v[16:17], v[90:91], v[72:73]
	v_add_f64 v[60:61], v[0:1], v[14:15]
	v_add_f64 v[0:1], v[10:11], v[14:15]
	v_fmac_f64_e32 v[16:17], v[88:89], v[70:71]
	s_waitcnt lgkmcnt(0)
	v_mul_f64 v[20:21], v[86:87], v[102:103]
	v_fmac_f64_e32 v[48:49], -0.5, v[0:1]
	v_add_f64 v[0:1], v[8:9], -v[12:13]
	v_mul_f64 v[18:19], v[90:91], v[70:71]
	v_fmac_f64_e32 v[20:21], v[84:85], v[100:101]
	v_mul_f64 v[22:23], v[86:87], v[100:101]
	v_fma_f64 v[68:69], s[2:3], v[0:1], v[48:49]
	v_fmac_f64_e32 v[48:49], s[0:1], v[0:1]
	v_add_f64 v[0:1], v[62:63], v[16:17]
	v_fma_f64 v[18:19], v[88:89], v[72:73], -v[18:19]
	v_fma_f64 v[22:23], v[84:85], v[102:103], -v[22:23]
	v_add_f64 v[70:71], v[0:1], v[20:21]
	v_add_f64 v[0:1], v[16:17], v[20:21]
	v_fmac_f64_e32 v[62:63], -0.5, v[0:1]
	v_add_f64 v[0:1], v[18:19], -v[22:23]
	v_fma_f64 v[74:75], s[0:1], v[0:1], v[62:63]
	v_fmac_f64_e32 v[62:63], s[2:3], v[0:1]
	v_add_f64 v[0:1], v[64:65], v[18:19]
	v_add_f64 v[72:73], v[0:1], v[22:23]
	;; [unrolled: 1-line block ×3, first 2 shown]
	v_fmac_f64_e32 v[64:65], -0.5, v[0:1]
	v_add_f64 v[0:1], v[16:17], -v[20:21]
	v_add_f64 v[50:51], v[50:51], v[4:5]
	v_add_f64 v[52:53], v[52:53], v[6:7]
	v_fma_f64 v[76:77], s[2:3], v[0:1], v[64:65]
	v_fmac_f64_e32 v[64:65], s[0:1], v[0:1]
	s_barrier
	ds_write_b128 v163, v[50:53]
	ds_write_b128 v163, v[54:57] offset:1584
	ds_write_b128 v163, v[42:45] offset:3168
	;; [unrolled: 1-line block ×8, first 2 shown]
	s_waitcnt lgkmcnt(0)
	s_barrier
	ds_read_b128 v[42:45], v163
	ds_read_b128 v[46:49], v163 offset:1584
	ds_read_b128 v[50:53], v163 offset:9504
	;; [unrolled: 1-line block ×8, first 2 shown]
	s_waitcnt lgkmcnt(4)
	v_mul_f64 v[0:1], v[94:95], v[60:61]
	v_mul_f64 v[4:5], v[98:99], v[52:53]
	v_fmac_f64_e32 v[0:1], v[92:93], v[58:59]
	v_mul_f64 v[2:3], v[94:95], v[58:59]
	v_fmac_f64_e32 v[4:5], v[96:97], v[50:51]
	v_mul_f64 v[6:7], v[98:99], v[50:51]
	v_fma_f64 v[2:3], v[92:93], v[60:61], -v[2:3]
	v_fma_f64 v[6:7], v[96:97], v[52:53], -v[6:7]
	v_add_f64 v[52:53], v[0:1], v[4:5]
	v_mul_f64 v[12:13], v[110:111], v[56:57]
	v_add_f64 v[50:51], v[42:43], v[0:1]
	v_fmac_f64_e32 v[42:43], -0.5, v[52:53]
	v_add_f64 v[52:53], v[2:3], -v[6:7]
	s_waitcnt lgkmcnt(2)
	v_mul_f64 v[8:9], v[106:107], v[68:69]
	v_fmac_f64_e32 v[12:13], v[108:109], v[54:55]
	v_mul_f64 v[14:15], v[110:111], v[54:55]
	v_fma_f64 v[54:55], s[0:1], v[52:53], v[42:43]
	v_fmac_f64_e32 v[42:43], s[2:3], v[52:53]
	v_add_f64 v[52:53], v[44:45], v[2:3]
	v_add_f64 v[2:3], v[2:3], v[6:7]
	v_fmac_f64_e32 v[8:9], v[104:105], v[66:67]
	v_fmac_f64_e32 v[44:45], -0.5, v[2:3]
	v_add_f64 v[0:1], v[0:1], -v[4:5]
	v_mul_f64 v[10:11], v[106:107], v[66:67]
	v_fma_f64 v[14:15], v[108:109], v[56:57], -v[14:15]
	v_fma_f64 v[56:57], s[2:3], v[0:1], v[44:45]
	v_fmac_f64_e32 v[44:45], s[0:1], v[0:1]
	v_add_f64 v[0:1], v[46:47], v[8:9]
	v_fma_f64 v[10:11], v[104:105], v[68:69], -v[10:11]
	v_add_f64 v[58:59], v[0:1], v[12:13]
	v_add_f64 v[0:1], v[8:9], v[12:13]
	v_fmac_f64_e32 v[46:47], -0.5, v[0:1]
	v_add_f64 v[0:1], v[10:11], -v[14:15]
	v_fma_f64 v[66:67], s[0:1], v[0:1], v[46:47]
	v_fmac_f64_e32 v[46:47], s[2:3], v[0:1]
	v_add_f64 v[0:1], v[48:49], v[10:11]
	s_waitcnt lgkmcnt(1)
	v_mul_f64 v[16:17], v[114:115], v[72:73]
	v_add_f64 v[60:61], v[0:1], v[14:15]
	v_add_f64 v[0:1], v[10:11], v[14:15]
	v_fmac_f64_e32 v[16:17], v[112:113], v[70:71]
	s_waitcnt lgkmcnt(0)
	v_mul_f64 v[20:21], v[118:119], v[76:77]
	v_fmac_f64_e32 v[48:49], -0.5, v[0:1]
	v_add_f64 v[0:1], v[8:9], -v[12:13]
	v_mul_f64 v[18:19], v[114:115], v[70:71]
	v_fmac_f64_e32 v[20:21], v[116:117], v[74:75]
	v_mul_f64 v[22:23], v[118:119], v[74:75]
	v_fma_f64 v[68:69], s[2:3], v[0:1], v[48:49]
	v_fmac_f64_e32 v[48:49], s[0:1], v[0:1]
	v_add_f64 v[0:1], v[62:63], v[16:17]
	v_fma_f64 v[18:19], v[112:113], v[72:73], -v[18:19]
	v_fma_f64 v[22:23], v[116:117], v[76:77], -v[22:23]
	v_add_f64 v[70:71], v[0:1], v[20:21]
	v_add_f64 v[0:1], v[16:17], v[20:21]
	v_fmac_f64_e32 v[62:63], -0.5, v[0:1]
	v_add_f64 v[0:1], v[18:19], -v[22:23]
	v_fma_f64 v[74:75], s[0:1], v[0:1], v[62:63]
	v_fmac_f64_e32 v[62:63], s[2:3], v[0:1]
	v_add_f64 v[0:1], v[64:65], v[18:19]
	v_add_f64 v[72:73], v[0:1], v[22:23]
	;; [unrolled: 1-line block ×5, first 2 shown]
	v_fmac_f64_e32 v[64:65], -0.5, v[0:1]
	v_add_f64 v[0:1], v[16:17], -v[20:21]
	v_fma_f64 v[76:77], s[2:3], v[0:1], v[64:65]
	v_fmac_f64_e32 v[64:65], s[0:1], v[0:1]
	ds_write_b128 v163, v[50:53]
	ds_write_b128 v163, v[54:57] offset:4752
	ds_write_b128 v163, v[42:45] offset:9504
	ds_write_b128 v163, v[58:61] offset:1584
	ds_write_b128 v180, v[66:69] offset:6336
	ds_write_b128 v180, v[46:49] offset:11088
	ds_write_b128 v163, v[70:73] offset:3168
	ds_write_b128 v181, v[74:77] offset:4752
	ds_write_b128 v181, v[62:65] offset:9504
	s_waitcnt lgkmcnt(0)
	s_barrier
	ds_read_b128 v[42:45], v163
	ds_read_b128 v[46:49], v163 offset:1584
	v_mov_b32_e32 v40, v39
	v_mad_u64_u32 v[0:1], s[0:1], s7, v162, v[40:41]
	v_mov_b32_e32 v39, v0
	s_waitcnt lgkmcnt(1)
	v_mul_f64 v[0:1], v[244:245], v[44:45]
	s_mov_b32 s0, 0x7210aa18
	v_fmac_f64_e32 v[0:1], v[242:243], v[42:43]
	s_mov_b32 s1, 0x3f526369
	v_mul_f64 v[40:41], v[0:1], s[0:1]
	v_mul_f64 v[0:1], v[244:245], v[42:43]
	v_fma_f64 v[0:1], v[242:243], v[44:45], -v[0:1]
	v_mul_f64 v[42:43], v[0:1], s[0:1]
	v_mad_u64_u32 v[0:1], s[2:3], s4, v160, 0
	v_mov_b32_e32 v2, v1
	v_mad_u64_u32 v[2:3], s[2:3], s5, v160, v[2:3]
	v_mov_b32_e32 v1, v2
	v_lshl_add_u64 v[2:3], v[38:39], 4, v[36:37]
	v_lshl_add_u64 v[0:1], v[0:1], 4, v[2:3]
	s_waitcnt lgkmcnt(0)
	v_mul_f64 v[2:3], v[236:237], v[48:49]
	v_fmac_f64_e32 v[2:3], v[234:235], v[46:47]
	v_mov_b32_e32 v16, 0x630
	ds_read_b128 v[12:15], v163 offset:3168
	global_store_dwordx4 v[0:1], v[40:43], off
	v_mul_f64 v[20:21], v[2:3], s[0:1]
	v_mul_f64 v[2:3], v[236:237], v[46:47]
	v_mad_u64_u32 v[0:1], s[2:3], s4, v16, v[0:1]
	v_fma_f64 v[2:3], v[234:235], v[48:49], -v[2:3]
	s_mul_i32 s2, s5, 0x630
	v_mul_f64 v[22:23], v[2:3], s[0:1]
	v_add_u32_e32 v1, s2, v1
	global_store_dwordx4 v[0:1], v[20:23], off
	ds_read_b128 v[20:23], v163 offset:4752
	s_waitcnt lgkmcnt(1)
	v_mul_f64 v[2:3], v[224:225], v[14:15]
	v_fmac_f64_e32 v[2:3], v[222:223], v[12:13]
	v_mul_f64 v[36:37], v[2:3], s[0:1]
	v_mul_f64 v[2:3], v[224:225], v[12:13]
	v_fma_f64 v[2:3], v[222:223], v[14:15], -v[2:3]
	v_mad_u64_u32 v[4:5], s[6:7], s4, v16, v[0:1]
	v_mul_f64 v[38:39], v[2:3], s[0:1]
	v_add_u32_e32 v5, s2, v5
	s_waitcnt lgkmcnt(0)
	v_mul_f64 v[0:1], v[34:35], v[22:23]
	v_mul_f64 v[2:3], v[34:35], v[20:21]
	global_store_dwordx4 v[4:5], v[36:39], off
	v_fmac_f64_e32 v[0:1], v[32:33], v[20:21]
	v_fma_f64 v[2:3], v[32:33], v[22:23], -v[2:3]
	v_mad_u64_u32 v[4:5], s[6:7], s4, v16, v[4:5]
	v_mul_f64 v[0:1], v[0:1], s[0:1]
	v_mul_f64 v[2:3], v[2:3], s[0:1]
	ds_read_b128 v[12:15], v163 offset:6336
	v_add_u32_e32 v5, s2, v5
	global_store_dwordx4 v[4:5], v[0:3], off
	ds_read_b128 v[0:3], v163 offset:7920
	v_mad_u64_u32 v[8:9], s[6:7], s4, v16, v[4:5]
	s_waitcnt lgkmcnt(1)
	v_mul_f64 v[6:7], v[228:229], v[14:15]
	v_fmac_f64_e32 v[6:7], v[226:227], v[12:13]
	s_waitcnt lgkmcnt(0)
	v_mul_f64 v[4:5], v[30:31], v[2:3]
	v_mul_f64 v[20:21], v[6:7], s[0:1]
	;; [unrolled: 1-line block ×3, first 2 shown]
	v_fmac_f64_e32 v[4:5], v[28:29], v[0:1]
	v_mul_f64 v[0:1], v[30:31], v[0:1]
	v_fma_f64 v[6:7], v[226:227], v[14:15], -v[6:7]
	v_fma_f64 v[0:1], v[28:29], v[2:3], -v[0:1]
	v_mul_f64 v[22:23], v[6:7], s[0:1]
	v_add_u32_e32 v9, s2, v9
	v_mul_f64 v[6:7], v[0:1], s[0:1]
	ds_read_b128 v[0:3], v163 offset:9504
	global_store_dwordx4 v[8:9], v[20:23], off
	v_mad_u64_u32 v[8:9], s[6:7], s4, v16, v[8:9]
	v_mul_f64 v[4:5], v[4:5], s[0:1]
	v_add_u32_e32 v9, s2, v9
	global_store_dwordx4 v[8:9], v[4:7], off
	ds_read_b128 v[4:7], v163 offset:11088
	s_waitcnt lgkmcnt(1)
	v_mul_f64 v[10:11], v[232:233], v[2:3]
	v_fmac_f64_e32 v[10:11], v[230:231], v[0:1]
	v_mul_f64 v[0:1], v[232:233], v[0:1]
	v_fma_f64 v[0:1], v[230:231], v[2:3], -v[0:1]
	v_mul_f64 v[14:15], v[0:1], s[0:1]
	s_waitcnt lgkmcnt(0)
	v_mul_f64 v[0:1], v[240:241], v[6:7]
	v_mul_f64 v[2:3], v[240:241], v[4:5]
	v_fmac_f64_e32 v[0:1], v[238:239], v[4:5]
	v_fma_f64 v[2:3], v[238:239], v[6:7], -v[2:3]
	ds_read_b128 v[4:7], v163 offset:12672
	v_mad_u64_u32 v[8:9], s[6:7], s4, v16, v[8:9]
	v_mul_f64 v[12:13], v[10:11], s[0:1]
	v_add_u32_e32 v9, s2, v9
	global_store_dwordx4 v[8:9], v[12:15], off
	v_mad_u64_u32 v[8:9], s[6:7], s4, v16, v[8:9]
	v_mul_f64 v[0:1], v[0:1], s[0:1]
	v_mul_f64 v[2:3], v[2:3], s[0:1]
	v_add_u32_e32 v9, s2, v9
	global_store_dwordx4 v[8:9], v[0:3], off
	s_waitcnt lgkmcnt(0)
	s_nop 0
	v_mul_f64 v[0:1], v[26:27], v[6:7]
	v_mul_f64 v[2:3], v[26:27], v[4:5]
	v_fmac_f64_e32 v[0:1], v[24:25], v[4:5]
	v_fma_f64 v[2:3], v[24:25], v[6:7], -v[2:3]
	v_mul_f64 v[0:1], v[0:1], s[0:1]
	v_mul_f64 v[2:3], v[2:3], s[0:1]
	v_mad_u64_u32 v[4:5], s[0:1], s4, v16, v[8:9]
	v_add_u32_e32 v5, s2, v5
	global_store_dwordx4 v[4:5], v[0:3], off
.LBB0_10:
	s_endpgm
	.section	.rodata,"a",@progbits
	.p2align	6, 0x0
	.amdhsa_kernel bluestein_single_back_len891_dim1_dp_op_CI_CI
		.amdhsa_group_segment_fixed_size 28512
		.amdhsa_private_segment_fixed_size 0
		.amdhsa_kernarg_size 104
		.amdhsa_user_sgpr_count 2
		.amdhsa_user_sgpr_dispatch_ptr 0
		.amdhsa_user_sgpr_queue_ptr 0
		.amdhsa_user_sgpr_kernarg_segment_ptr 1
		.amdhsa_user_sgpr_dispatch_id 0
		.amdhsa_user_sgpr_kernarg_preload_length 0
		.amdhsa_user_sgpr_kernarg_preload_offset 0
		.amdhsa_user_sgpr_private_segment_size 0
		.amdhsa_uses_dynamic_stack 0
		.amdhsa_enable_private_segment 0
		.amdhsa_system_sgpr_workgroup_id_x 1
		.amdhsa_system_sgpr_workgroup_id_y 0
		.amdhsa_system_sgpr_workgroup_id_z 0
		.amdhsa_system_sgpr_workgroup_info 0
		.amdhsa_system_vgpr_workitem_id 0
		.amdhsa_next_free_vgpr 298
		.amdhsa_next_free_sgpr 44
		.amdhsa_accum_offset 256
		.amdhsa_reserve_vcc 1
		.amdhsa_float_round_mode_32 0
		.amdhsa_float_round_mode_16_64 0
		.amdhsa_float_denorm_mode_32 3
		.amdhsa_float_denorm_mode_16_64 3
		.amdhsa_dx10_clamp 1
		.amdhsa_ieee_mode 1
		.amdhsa_fp16_overflow 0
		.amdhsa_tg_split 0
		.amdhsa_exception_fp_ieee_invalid_op 0
		.amdhsa_exception_fp_denorm_src 0
		.amdhsa_exception_fp_ieee_div_zero 0
		.amdhsa_exception_fp_ieee_overflow 0
		.amdhsa_exception_fp_ieee_underflow 0
		.amdhsa_exception_fp_ieee_inexact 0
		.amdhsa_exception_int_div_zero 0
	.end_amdhsa_kernel
	.text
.Lfunc_end0:
	.size	bluestein_single_back_len891_dim1_dp_op_CI_CI, .Lfunc_end0-bluestein_single_back_len891_dim1_dp_op_CI_CI
                                        ; -- End function
	.section	.AMDGPU.csdata,"",@progbits
; Kernel info:
; codeLenInByte = 14024
; NumSgprs: 50
; NumVgprs: 256
; NumAgprs: 42
; TotalNumVgprs: 298
; ScratchSize: 0
; MemoryBound: 0
; FloatMode: 240
; IeeeMode: 1
; LDSByteSize: 28512 bytes/workgroup (compile time only)
; SGPRBlocks: 6
; VGPRBlocks: 37
; NumSGPRsForWavesPerEU: 50
; NumVGPRsForWavesPerEU: 298
; AccumOffset: 256
; Occupancy: 1
; WaveLimiterHint : 1
; COMPUTE_PGM_RSRC2:SCRATCH_EN: 0
; COMPUTE_PGM_RSRC2:USER_SGPR: 2
; COMPUTE_PGM_RSRC2:TRAP_HANDLER: 0
; COMPUTE_PGM_RSRC2:TGID_X_EN: 1
; COMPUTE_PGM_RSRC2:TGID_Y_EN: 0
; COMPUTE_PGM_RSRC2:TGID_Z_EN: 0
; COMPUTE_PGM_RSRC2:TIDIG_COMP_CNT: 0
; COMPUTE_PGM_RSRC3_GFX90A:ACCUM_OFFSET: 63
; COMPUTE_PGM_RSRC3_GFX90A:TG_SPLIT: 0
	.text
	.p2alignl 6, 3212836864
	.fill 256, 4, 3212836864
	.type	__hip_cuid_b80d6ff771a52136,@object ; @__hip_cuid_b80d6ff771a52136
	.section	.bss,"aw",@nobits
	.globl	__hip_cuid_b80d6ff771a52136
__hip_cuid_b80d6ff771a52136:
	.byte	0                               ; 0x0
	.size	__hip_cuid_b80d6ff771a52136, 1

	.ident	"AMD clang version 19.0.0git (https://github.com/RadeonOpenCompute/llvm-project roc-6.4.0 25133 c7fe45cf4b819c5991fe208aaa96edf142730f1d)"
	.section	".note.GNU-stack","",@progbits
	.addrsig
	.addrsig_sym __hip_cuid_b80d6ff771a52136
	.amdgpu_metadata
---
amdhsa.kernels:
  - .agpr_count:     42
    .args:
      - .actual_access:  read_only
        .address_space:  global
        .offset:         0
        .size:           8
        .value_kind:     global_buffer
      - .actual_access:  read_only
        .address_space:  global
        .offset:         8
        .size:           8
        .value_kind:     global_buffer
      - .actual_access:  read_only
        .address_space:  global
        .offset:         16
        .size:           8
        .value_kind:     global_buffer
      - .actual_access:  read_only
        .address_space:  global
        .offset:         24
        .size:           8
        .value_kind:     global_buffer
      - .actual_access:  read_only
        .address_space:  global
        .offset:         32
        .size:           8
        .value_kind:     global_buffer
      - .offset:         40
        .size:           8
        .value_kind:     by_value
      - .address_space:  global
        .offset:         48
        .size:           8
        .value_kind:     global_buffer
      - .address_space:  global
        .offset:         56
        .size:           8
        .value_kind:     global_buffer
      - .address_space:  global
        .offset:         64
        .size:           8
        .value_kind:     global_buffer
      - .address_space:  global
        .offset:         72
        .size:           8
        .value_kind:     global_buffer
      - .offset:         80
        .size:           4
        .value_kind:     by_value
      - .address_space:  global
        .offset:         88
        .size:           8
        .value_kind:     global_buffer
      - .address_space:  global
        .offset:         96
        .size:           8
        .value_kind:     global_buffer
    .group_segment_fixed_size: 28512
    .kernarg_segment_align: 8
    .kernarg_segment_size: 104
    .language:       OpenCL C
    .language_version:
      - 2
      - 0
    .max_flat_workgroup_size: 198
    .name:           bluestein_single_back_len891_dim1_dp_op_CI_CI
    .private_segment_fixed_size: 0
    .sgpr_count:     50
    .sgpr_spill_count: 0
    .symbol:         bluestein_single_back_len891_dim1_dp_op_CI_CI.kd
    .uniform_work_group_size: 1
    .uses_dynamic_stack: false
    .vgpr_count:     298
    .vgpr_spill_count: 0
    .wavefront_size: 64
amdhsa.target:   amdgcn-amd-amdhsa--gfx950
amdhsa.version:
  - 1
  - 2
...

	.end_amdgpu_metadata
